;; amdgpu-corpus repo=ROCm/rocFFT kind=compiled arch=gfx906 opt=O3
	.text
	.amdgcn_target "amdgcn-amd-amdhsa--gfx906"
	.amdhsa_code_object_version 6
	.protected	bluestein_single_fwd_len408_dim1_dp_op_CI_CI ; -- Begin function bluestein_single_fwd_len408_dim1_dp_op_CI_CI
	.globl	bluestein_single_fwd_len408_dim1_dp_op_CI_CI
	.p2align	8
	.type	bluestein_single_fwd_len408_dim1_dp_op_CI_CI,@function
bluestein_single_fwd_len408_dim1_dp_op_CI_CI: ; @bluestein_single_fwd_len408_dim1_dp_op_CI_CI
; %bb.0:
	v_mul_u32_u24_e32 v1, 0xf10, v0
	s_mov_b64 s[62:63], s[2:3]
	s_load_dwordx4 s[12:15], s[4:5], 0x28
	v_lshrrev_b32_e32 v1, 16, v1
	s_mov_b64 s[60:61], s[0:1]
	v_mad_u64_u32 v[77:78], s[0:1], s6, 3, v[1:2]
	v_mov_b32_e32 v78, 0
	s_add_u32 s60, s60, s7
	s_waitcnt lgkmcnt(0)
	v_cmp_gt_u64_e32 vcc, s[12:13], v[77:78]
	s_addc_u32 s61, s61, 0
	s_and_saveexec_b64 s[0:1], vcc
	s_cbranch_execz .LBB0_15
; %bb.1:
	s_load_dwordx4 s[8:11], s[4:5], 0x18
	v_mul_lo_u16_e32 v1, 17, v1
	v_sub_u16_e32 v158, v0, v1
	v_mov_b32_e32 v7, s15
	v_lshlrev_b32_e32 v82, 4, v158
	s_waitcnt lgkmcnt(0)
	s_load_dwordx4 s[0:3], s[8:9], 0x0
	v_or_b32_e32 v12, 0x60, v158
	v_or_b32_e32 v14, 0xc0, v158
	;; [unrolled: 1-line block ×4, first 2 shown]
	s_waitcnt lgkmcnt(0)
	v_mad_u64_u32 v[0:1], s[6:7], s2, v77, 0
	v_mad_u64_u32 v[2:3], s[6:7], s0, v158, 0
	s_load_dwordx2 s[6:7], s[4:5], 0x0
	v_mad_u64_u32 v[10:11], s[12:13], s0, v14, 0
	v_mad_u64_u32 v[4:5], s[2:3], s3, v77, v[1:2]
	s_waitcnt lgkmcnt(0)
	v_mov_b32_e32 v8, s7
	s_mul_i32 s9, s1, 24
	v_mad_u64_u32 v[5:6], s[2:3], s1, v158, v[3:4]
	v_mov_b32_e32 v1, v4
	v_lshlrev_b64 v[0:1], 4, v[0:1]
	v_mov_b32_e32 v3, v5
	v_lshlrev_b64 v[2:3], 4, v[2:3]
	v_add_co_u32_e32 v6, vcc, s14, v0
	v_addc_co_u32_e32 v7, vcc, v7, v1, vcc
	v_add_co_u32_e32 v4, vcc, v6, v2
	v_addc_co_u32_e32 v5, vcc, v7, v3, vcc
	;; [unrolled: 2-line block ×3, first 2 shown]
	v_mad_u64_u32 v[8:9], s[2:3], s0, v12, 0
	s_mul_hi_u32 s14, s0, 24
	s_mul_i32 s8, s0, 24
	s_add_i32 s9, s14, s9
	global_load_dwordx4 v[78:81], v82, s[6:7]
	global_load_dwordx4 v[0:3], v[4:5], off
	global_load_dwordx4 v[148:151], v82, s[6:7] offset:384
	global_load_dwordx4 v[144:147], v82, s[6:7] offset:768
	;; [unrolled: 1-line block ×7, first 2 shown]
	s_lshl_b64 s[12:13], s[8:9], 4
	buffer_store_dword v12, off, s[60:63], 0 offset:152 ; 4-byte Folded Spill
	v_mad_u64_u32 v[12:13], s[8:9], s1, v12, v[9:10]
	buffer_store_dword v14, off, s[60:63], 0 offset:148 ; 4-byte Folded Spill
	v_mov_b32_e32 v66, s13
	v_mov_b32_e32 v9, v12
	v_lshlrev_b64 v[8:9], 4, v[8:9]
	v_mad_u64_u32 v[13:14], s[8:9], s1, v14, v[11:12]
	v_add_co_u32_e32 v8, vcc, v6, v8
	v_addc_co_u32_e32 v9, vcc, v7, v9, vcc
	v_add_co_u32_e32 v4, vcc, s12, v4
	v_addc_co_u32_e32 v5, vcc, v5, v66, vcc
	v_add_co_u32_e32 v18, vcc, s12, v4
	v_mov_b32_e32 v11, v13
	v_addc_co_u32_e32 v19, vcc, v5, v66, vcc
	s_mul_i32 s3, s1, 0x300
	s_mul_hi_u32 s15, s0, 0x300
	v_lshlrev_b64 v[38:39], 4, v[10:11]
	global_load_dwordx4 v[10:13], v[8:9], off
	global_load_dwordx4 v[14:17], v[4:5], off
	v_add_co_u32_e32 v4, vcc, s12, v18
	s_mul_i32 s2, s0, 0x300
	s_add_i32 s3, s15, s3
	v_addc_co_u32_e32 v5, vcc, v19, v66, vcc
	v_mov_b32_e32 v26, s3
	v_add_co_u32_e32 v8, vcc, s2, v4
	v_addc_co_u32_e32 v9, vcc, v5, v26, vcc
	global_load_dwordx4 v[22:25], v[4:5], off
	global_load_dwordx4 v[26:29], v[8:9], off
	v_add_co_u32_e32 v4, vcc, s12, v8
	v_addc_co_u32_e32 v5, vcc, v9, v66, vcc
	v_add_co_u32_e32 v8, vcc, s12, v4
	v_addc_co_u32_e32 v9, vcc, v5, v66, vcc
	global_load_dwordx4 v[30:33], v[4:5], off
	v_add_co_u32_e32 v4, vcc, v6, v38
	v_addc_co_u32_e32 v5, vcc, v7, v39, vcc
	global_load_dwordx4 v[38:41], v[4:5], off
	v_mov_b32_e32 v5, s3
	v_add_co_u32_e32 v4, vcc, s2, v8
	v_addc_co_u32_e32 v5, vcc, v9, v5, vcc
	v_mad_u64_u32 v[54:55], s[8:9], s0, v59, 0
	global_load_dwordx4 v[18:21], v[18:19], off
	s_movk_i32 s14, 0x1000
	global_load_dwordx4 v[34:37], v[8:9], off
	global_load_dwordx4 v[42:45], v[4:5], off
	global_load_dwordx4 v[120:123], v82, s[6:7] offset:3072
	global_load_dwordx4 v[98:101], v82, s[6:7] offset:3456
	v_add_co_u32_e32 v4, vcc, s12, v4
	v_addc_co_u32_e32 v5, vcc, v5, v66, vcc
	global_load_dwordx4 v[46:49], v[4:5], off
	global_load_dwordx4 v[94:97], v82, s[6:7] offset:3840
	v_add_co_u32_e32 v4, vcc, s12, v4
	v_addc_co_u32_e32 v5, vcc, v5, v66, vcc
	v_mov_b32_e32 v8, v55
	global_load_dwordx4 v[50:53], v[4:5], off
	v_mad_u64_u32 v[55:56], s[8:9], s1, v59, v[8:9]
	v_add_co_u32_e32 v8, vcc, s14, v57
	buffer_store_dword v57, off, s[60:63], 0 offset:132 ; 4-byte Folded Spill
	s_nop 0
	buffer_store_dword v58, off, s[60:63], 0 offset:136 ; 4-byte Folded Spill
	v_lshlrev_b64 v[54:55], 4, v[54:55]
	buffer_store_dword v59, off, s[60:63], 0 offset:188 ; 4-byte Folded Spill
	s_waitcnt vmcnt(26)
	v_mul_f64 v[74:75], v[2:3], v[80:81]
	s_mov_b32 s8, 0xaaaaaaab
	s_waitcnt vmcnt(7)
	v_mul_f64 v[84:85], v[38:39], v[122:123]
	v_addc_co_u32_e32 v9, vcc, 0, v58, vcc
	v_add_co_u32_e32 v54, vcc, v6, v54
	v_addc_co_u32_e32 v55, vcc, v7, v55, vcc
	v_lshlrev_b32_e32 v58, 4, v59
	buffer_store_dword v58, off, s[60:63], 0 offset:456 ; 4-byte Folded Spill
	global_load_dwordx4 v[108:111], v58, s[6:7]
	v_mov_b32_e32 v58, s3
	v_add_co_u32_e32 v4, vcc, s2, v4
	v_addc_co_u32_e32 v5, vcc, v5, v58, vcc
	v_mad_u64_u32 v[70:71], s[2:3], s0, v76, 0
	global_load_dwordx4 v[54:57], v[54:55], off
	s_nop 0
	global_load_dwordx4 v[58:61], v[4:5], off
	global_load_dwordx4 v[136:139], v[8:9], off offset:128
	global_load_dwordx4 v[102:105], v[8:9], off offset:896
	v_add_co_u32_e32 v4, vcc, s12, v4
	v_addc_co_u32_e32 v5, vcc, v5, v66, vcc
	global_load_dwordx4 v[62:65], v[4:5], off
	v_add_co_u32_e32 v4, vcc, s12, v4
	v_addc_co_u32_e32 v5, vcc, v5, v66, vcc
	v_mov_b32_e32 v66, v71
	v_mad_u64_u32 v[71:72], s[2:3], s1, v76, v[66:67]
	global_load_dwordx4 v[66:69], v[4:5], off
	global_load_dwordx4 v[128:131], v[8:9], off offset:1280
	global_load_dwordx4 v[116:119], v[8:9], off offset:1664
	s_load_dwordx2 s[2:3], s[4:5], 0x38
	v_lshlrev_b64 v[70:71], 4, v[70:71]
	buffer_store_dword v76, off, s[60:63], 0 offset:192 ; 4-byte Folded Spill
	v_add_co_u32_e32 v6, vcc, v6, v70
	v_addc_co_u32_e32 v7, vcc, v7, v71, vcc
	global_load_dwordx4 v[70:73], v[6:7], off
	v_lshlrev_b32_e32 v6, 4, v76
	buffer_store_dword v6, off, s[60:63], 0 offset:440 ; 4-byte Folded Spill
	global_load_dwordx4 v[112:115], v6, s[6:7]
	v_mul_f64 v[6:7], v[0:1], v[80:81]
	v_fma_f64 v[0:1], v[0:1], v[78:79], v[74:75]
	buffer_store_dword v78, off, s[60:63], 0 offset:156 ; 4-byte Folded Spill
	s_nop 0
	buffer_store_dword v79, off, s[60:63], 0 offset:160 ; 4-byte Folded Spill
	buffer_store_dword v80, off, s[60:63], 0 offset:164 ; 4-byte Folded Spill
	;; [unrolled: 1-line block ×3, first 2 shown]
	v_mul_hi_u32 v76, v77, s8
	s_load_dwordx4 s[8:11], s[10:11], 0x0
	v_mul_f64 v[80:81], v[12:13], v[134:135]
	v_mul_f64 v[74:75], v[18:19], v[146:147]
	v_cmp_gt_u16_e32 vcc, 7, v158
	v_fma_f64 v[2:3], v[2:3], v[78:79], -v[6:7]
	v_lshrrev_b32_e32 v6, 1, v76
	v_lshl_add_u32 v6, v6, 1, v6
	v_sub_u32_e32 v6, v77, v6
	v_mul_u32_u24_e32 v153, 0x198, v6
	v_mov_b32_e32 v7, v77
	v_lshlrev_b32_e32 v152, 4, v153
	buffer_store_dword v7, off, s[60:63], 0 offset:140 ; 4-byte Folded Spill
	s_nop 0
	buffer_store_dword v8, off, s[60:63], 0 offset:144 ; 4-byte Folded Spill
	v_add_u32_e32 v107, v82, v152
	ds_write_b128 v107, v[0:3]
	v_mul_f64 v[0:1], v[16:17], v[150:151]
	v_mul_f64 v[6:7], v[20:21], v[146:147]
	;; [unrolled: 1-line block ×3, first 2 shown]
	buffer_store_dword v82, off, s[60:63], 0 offset:472 ; 4-byte Folded Spill
	v_mul_f64 v[2:3], v[14:15], v[150:151]
	v_mul_f64 v[78:79], v[22:23], v[142:143]
	;; [unrolled: 1-line block ×3, first 2 shown]
	v_fma_f64 v[10:11], v[10:11], v[132:133], v[80:81]
	v_fma_f64 v[0:1], v[14:15], v[148:149], v[0:1]
	buffer_store_dword v148, off, s[60:63], 0 offset:420 ; 4-byte Folded Spill
	s_nop 0
	buffer_store_dword v149, off, s[60:63], 0 offset:424 ; 4-byte Folded Spill
	buffer_store_dword v150, off, s[60:63], 0 offset:428 ; 4-byte Folded Spill
	buffer_store_dword v151, off, s[60:63], 0 offset:432 ; 4-byte Folded Spill
	v_fma_f64 v[14:15], v[18:19], v[144:145], v[6:7]
	buffer_store_dword v144, off, s[60:63], 0 offset:404 ; 4-byte Folded Spill
	s_nop 0
	buffer_store_dword v145, off, s[60:63], 0 offset:408 ; 4-byte Folded Spill
	buffer_store_dword v146, off, s[60:63], 0 offset:412 ; 4-byte Folded Spill
	buffer_store_dword v147, off, s[60:63], 0 offset:416 ; 4-byte Folded Spill
	;; [unrolled: 6-line block ×3, first 2 shown]
	buffer_store_dword v132, off, s[60:63], 0 offset:356 ; 4-byte Folded Spill
	s_nop 0
	buffer_store_dword v133, off, s[60:63], 0 offset:360 ; 4-byte Folded Spill
	buffer_store_dword v134, off, s[60:63], 0 offset:364 ; 4-byte Folded Spill
	;; [unrolled: 1-line block ×3, first 2 shown]
	v_mul_f64 v[6:7], v[28:29], v[126:127]
	v_mul_f64 v[76:77], v[30:31], v[92:93]
	;; [unrolled: 1-line block ×3, first 2 shown]
	v_fma_f64 v[22:23], v[26:27], v[124:125], v[6:7]
	s_waitcnt vmcnt(41)
	v_mul_f64 v[6:7], v[48:49], v[96:97]
	v_fma_f64 v[2:3], v[16:17], v[148:149], -v[2:3]
	v_fma_f64 v[16:17], v[20:21], v[144:145], -v[74:75]
	v_mul_f64 v[74:75], v[32:33], v[92:93]
	v_fma_f64 v[20:21], v[24:25], v[140:141], -v[78:79]
	v_mul_f64 v[78:79], v[36:37], v[88:89]
	;; [unrolled: 2-line block ×3, first 2 shown]
	v_mul_f64 v[24:25], v[26:27], v[126:127]
	buffer_store_dword v124, off, s[60:63], 0 offset:324 ; 4-byte Folded Spill
	s_nop 0
	buffer_store_dword v125, off, s[60:63], 0 offset:328 ; 4-byte Folded Spill
	buffer_store_dword v126, off, s[60:63], 0 offset:332 ; 4-byte Folded Spill
	buffer_store_dword v127, off, s[60:63], 0 offset:336 ; 4-byte Folded Spill
	v_fma_f64 v[26:27], v[30:31], v[90:91], v[74:75]
	buffer_store_dword v90, off, s[60:63], 0 offset:196 ; 4-byte Folded Spill
	s_nop 0
	buffer_store_dword v91, off, s[60:63], 0 offset:200 ; 4-byte Folded Spill
	buffer_store_dword v92, off, s[60:63], 0 offset:204 ; 4-byte Folded Spill
	buffer_store_dword v93, off, s[60:63], 0 offset:208 ; 4-byte Folded Spill
	v_fma_f64 v[30:31], v[34:35], v[86:87], v[78:79]
	;; [unrolled: 6-line block ×3, first 2 shown]
	buffer_store_dword v120, off, s[60:63], 0 offset:308 ; 4-byte Folded Spill
	s_nop 0
	buffer_store_dword v121, off, s[60:63], 0 offset:312 ; 4-byte Folded Spill
	buffer_store_dword v122, off, s[60:63], 0 offset:316 ; 4-byte Folded Spill
	;; [unrolled: 1-line block ×3, first 2 shown]
	v_fma_f64 v[24:25], v[28:29], v[124:125], -v[24:25]
	v_fma_f64 v[28:29], v[32:33], v[90:91], -v[76:77]
	;; [unrolled: 1-line block ×4, first 2 shown]
	ds_write_b128 v107, v[0:3] offset:384
	ds_write_b128 v107, v[14:17] offset:768
	;; [unrolled: 1-line block ×8, first 2 shown]
	v_mul_f64 v[0:1], v[44:45], v[100:101]
	s_waitcnt vmcnt(48)
	v_mul_f64 v[14:15], v[52:53], v[138:139]
	v_mul_f64 v[18:19], v[56:57], v[110:111]
	v_fma_f64 v[10:11], v[46:47], v[94:95], v[6:7]
	s_waitcnt vmcnt(47)
	v_mul_f64 v[6:7], v[60:61], v[104:105]
	s_waitcnt vmcnt(44)
	v_mul_f64 v[26:27], v[64:65], v[130:131]
	;; [unrolled: 2-line block ×4, first 2 shown]
	v_mul_f64 v[2:3], v[42:43], v[100:101]
	v_fma_f64 v[0:1], v[42:43], v[98:99], v[0:1]
	buffer_store_dword v98, off, s[60:63], 0 offset:228 ; 4-byte Folded Spill
	s_nop 0
	buffer_store_dword v99, off, s[60:63], 0 offset:232 ; 4-byte Folded Spill
	buffer_store_dword v100, off, s[60:63], 0 offset:236 ; 4-byte Folded Spill
	;; [unrolled: 1-line block ×3, first 2 shown]
	v_mul_f64 v[12:13], v[46:47], v[96:97]
	buffer_store_dword v94, off, s[60:63], 0 offset:212 ; 4-byte Folded Spill
	s_nop 0
	buffer_store_dword v95, off, s[60:63], 0 offset:216 ; 4-byte Folded Spill
	buffer_store_dword v96, off, s[60:63], 0 offset:220 ; 4-byte Folded Spill
	buffer_store_dword v97, off, s[60:63], 0 offset:224 ; 4-byte Folded Spill
	v_mul_f64 v[16:17], v[50:51], v[138:139]
	v_fma_f64 v[14:15], v[50:51], v[136:137], v[14:15]
	buffer_store_dword v136, off, s[60:63], 0 offset:372 ; 4-byte Folded Spill
	s_nop 0
	buffer_store_dword v137, off, s[60:63], 0 offset:376 ; 4-byte Folded Spill
	buffer_store_dword v138, off, s[60:63], 0 offset:380 ; 4-byte Folded Spill
	buffer_store_dword v139, off, s[60:63], 0 offset:384 ; 4-byte Folded Spill
	v_mul_f64 v[20:21], v[54:55], v[110:111]
	v_fma_f64 v[18:19], v[54:55], v[108:109], v[18:19]
	;; [unrolled: 7-line block ×6, first 2 shown]
	buffer_store_dword v112, off, s[60:63], 0 offset:276 ; 4-byte Folded Spill
	s_nop 0
	buffer_store_dword v113, off, s[60:63], 0 offset:280 ; 4-byte Folded Spill
	buffer_store_dword v114, off, s[60:63], 0 offset:284 ; 4-byte Folded Spill
	;; [unrolled: 1-line block ×3, first 2 shown]
	v_fma_f64 v[2:3], v[44:45], v[98:99], -v[2:3]
	v_fma_f64 v[12:13], v[48:49], v[94:95], -v[12:13]
	;; [unrolled: 1-line block ×8, first 2 shown]
	ds_write_b128 v107, v[0:3] offset:3456
	ds_write_b128 v107, v[10:13] offset:3840
	ds_write_b128 v107, v[14:17] offset:4224
	ds_write_b128 v107, v[18:21] offset:4608
	ds_write_b128 v107, v[22:25] offset:4992
	ds_write_b128 v107, v[26:29] offset:5376
	ds_write_b128 v107, v[30:33] offset:5760
	ds_write_b128 v107, v[34:37] offset:6144
	s_and_saveexec_b64 s[14:15], vcc
	s_cbranch_execz .LBB0_3
; %bb.2:
	buffer_load_dword v42, off, s[60:63], 0 offset:132 ; 4-byte Folded Reload
	buffer_load_dword v43, off, s[60:63], 0 offset:136 ; 4-byte Folded Reload
	v_mov_b32_e32 v0, 0xffffea90
	v_mad_u64_u32 v[58:59], s[16:17], s0, v0, v[4:5]
	s_mulk_i32 s1, 0xea90
	s_sub_i32 s0, s1, s0
	v_add_u32_e32 v59, s0, v59
	v_mov_b32_e32 v134, s13
	v_add_co_u32_e64 v61, s[0:1], s12, v58
	v_addc_co_u32_e64 v62, s[0:1], v59, v134, s[0:1]
	v_add_co_u32_e64 v65, s[0:1], s12, v61
	v_addc_co_u32_e64 v66, s[0:1], v62, v134, s[0:1]
	;; [unrolled: 2-line block ×15, first 2 shown]
	s_waitcnt vmcnt(0)
	global_load_dwordx4 v[0:3], v[42:43], off offset:272
	global_load_dwordx4 v[4:7], v[58:59], off
	global_load_dwordx4 v[10:13], v[42:43], off offset:656
	global_load_dwordx4 v[14:17], v[42:43], off offset:1040
	;; [unrolled: 1-line block ×8, first 2 shown]
	s_nop 0
	global_load_dwordx4 v[42:45], v[42:43], off offset:3728
	s_nop 0
	global_load_dwordx4 v[46:49], v[8:9], off offset:16
	global_load_dwordx4 v[50:53], v[8:9], off offset:400
	;; [unrolled: 1-line block ×3, first 2 shown]
	global_load_dwordx4 v[108:111], v[116:117], off
	global_load_dwordx4 v[112:115], v[8:9], off offset:1168
	s_waitcnt vmcnt(14)
	v_mul_f64 v[140:141], v[6:7], v[2:3]
	global_load_dwordx4 v[58:61], v[61:62], off
	s_nop 0
	global_load_dwordx4 v[62:65], v[65:66], off
	s_nop 0
	;; [unrolled: 2-line block ×13, first 2 shown]
	global_load_dwordx4 v[120:123], v[132:133], off
	global_load_dwordx4 v[124:127], v[8:9], off offset:1552
	global_load_dwordx4 v[128:131], v[8:9], off offset:1936
	v_add_co_u32_e64 v132, s[0:1], s12, v132
	v_addc_co_u32_e64 v133, s[0:1], v133, v134, s[0:1]
	global_load_dwordx4 v[132:135], v[132:133], off
	s_nop 0
	global_load_dwordx4 v[136:139], v[8:9], off offset:2320
	v_mul_f64 v[8:9], v[4:5], v[2:3]
	v_fma_f64 v[2:3], v[4:5], v[0:1], v[140:141]
	v_fma_f64 v[4:5], v[6:7], v[0:1], -v[8:9]
	ds_write_b128 v107, v[2:5] offset:272
	s_waitcnt vmcnt(17)
	v_mul_f64 v[0:1], v[60:61], v[12:13]
	v_mul_f64 v[2:3], v[58:59], v[12:13]
	s_waitcnt vmcnt(16)
	v_mul_f64 v[4:5], v[64:65], v[16:17]
	v_mul_f64 v[6:7], v[62:63], v[16:17]
	;; [unrolled: 3-line block ×4, first 2 shown]
	v_fma_f64 v[0:1], v[58:59], v[10:11], v[0:1]
	v_fma_f64 v[2:3], v[60:61], v[10:11], -v[2:3]
	v_fma_f64 v[4:5], v[62:63], v[14:15], v[4:5]
	v_fma_f64 v[6:7], v[64:65], v[14:15], -v[6:7]
	;; [unrolled: 2-line block ×3, first 2 shown]
	v_fma_f64 v[12:13], v[70:71], v[22:23], v[16:17]
	s_waitcnt vmcnt(13)
	v_mul_f64 v[16:17], v[76:77], v[28:29]
	v_mul_f64 v[18:19], v[74:75], v[28:29]
	v_fma_f64 v[14:15], v[72:73], v[22:23], -v[20:21]
	s_waitcnt vmcnt(12)
	v_mul_f64 v[20:21], v[80:81], v[32:33]
	v_mul_f64 v[22:23], v[78:79], v[32:33]
	s_waitcnt vmcnt(11)
	v_mul_f64 v[24:25], v[84:85], v[36:37]
	v_mul_f64 v[28:29], v[82:83], v[36:37]
	;; [unrolled: 3-line block ×3, first 2 shown]
	v_fma_f64 v[16:17], v[74:75], v[26:27], v[16:17]
	v_fma_f64 v[18:19], v[76:77], v[26:27], -v[18:19]
	v_fma_f64 v[20:21], v[78:79], v[30:31], v[20:21]
	v_fma_f64 v[22:23], v[80:81], v[30:31], -v[22:23]
	;; [unrolled: 2-line block ×4, first 2 shown]
	ds_write_b128 v107, v[0:3] offset:656
	ds_write_b128 v107, v[4:7] offset:1040
	ds_write_b128 v107, v[8:11] offset:1424
	ds_write_b128 v107, v[12:15] offset:1808
	ds_write_b128 v107, v[16:19] offset:2192
	ds_write_b128 v107, v[20:23] offset:2576
	ds_write_b128 v107, v[24:27] offset:2960
	ds_write_b128 v107, v[28:31] offset:3344
	s_waitcnt vmcnt(9)
	v_mul_f64 v[0:1], v[92:93], v[44:45]
	v_mul_f64 v[2:3], v[90:91], v[44:45]
	s_waitcnt vmcnt(8)
	v_mul_f64 v[4:5], v[96:97], v[48:49]
	v_mul_f64 v[6:7], v[94:95], v[48:49]
	;; [unrolled: 3-line block ×4, first 2 shown]
	v_mul_f64 v[16:17], v[110:111], v[114:115]
	v_mul_f64 v[18:19], v[108:109], v[114:115]
	s_waitcnt vmcnt(3)
	v_mul_f64 v[20:21], v[118:119], v[126:127]
	v_mul_f64 v[22:23], v[116:117], v[126:127]
	s_waitcnt vmcnt(2)
	;; [unrolled: 3-line block ×3, first 2 shown]
	v_mul_f64 v[28:29], v[134:135], v[138:139]
	v_mul_f64 v[30:31], v[132:133], v[138:139]
	v_fma_f64 v[0:1], v[90:91], v[42:43], v[0:1]
	v_fma_f64 v[2:3], v[92:93], v[42:43], -v[2:3]
	v_fma_f64 v[4:5], v[94:95], v[46:47], v[4:5]
	v_fma_f64 v[6:7], v[96:97], v[46:47], -v[6:7]
	;; [unrolled: 2-line block ×8, first 2 shown]
	ds_write_b128 v107, v[0:3] offset:3728
	ds_write_b128 v107, v[4:7] offset:4112
	;; [unrolled: 1-line block ×8, first 2 shown]
.LBB0_3:
	s_or_b64 exec, exec, s[14:15]
	buffer_store_dword v153, off, s[60:63], 0 offset:488 ; 4-byte Folded Spill
	buffer_store_dword v152, off, s[60:63], 0 offset:436 ; 4-byte Folded Spill
	s_waitcnt lgkmcnt(0)
	; wave barrier
	s_waitcnt lgkmcnt(0)
	ds_read_b128 v[76:79], v107
	ds_read_b128 v[80:83], v107 offset:384
	ds_read_b128 v[68:71], v107 offset:768
	ds_read_b128 v[60:63], v107 offset:1152
	ds_read_b128 v[52:55], v107 offset:1536
	ds_read_b128 v[44:47], v107 offset:1920
	ds_read_b128 v[36:39], v107 offset:2304
	ds_read_b128 v[28:31], v107 offset:2688
	ds_read_b128 v[20:23], v107 offset:3072
	ds_read_b128 v[24:27], v107 offset:3456
	ds_read_b128 v[32:35], v107 offset:3840
	ds_read_b128 v[40:43], v107 offset:4224
	ds_read_b128 v[48:51], v107 offset:4608
	ds_read_b128 v[56:59], v107 offset:4992
	ds_read_b128 v[64:67], v107 offset:5376
	ds_read_b128 v[72:75], v107 offset:5760
	ds_read_b128 v[84:87], v107 offset:6144
	s_load_dwordx2 s[4:5], s[4:5], 0x8
                                        ; implicit-def: $vgpr136_vgpr137
                                        ; implicit-def: $vgpr140_vgpr141
                                        ; implicit-def: $vgpr12_vgpr13
                                        ; implicit-def: $vgpr4_vgpr5
                                        ; implicit-def: $vgpr8_vgpr9
                                        ; implicit-def: $vgpr16_vgpr17
                                        ; implicit-def: $vgpr108_vgpr109
                                        ; implicit-def: $vgpr112_vgpr113
                                        ; implicit-def: $vgpr116_vgpr117
                                        ; implicit-def: $vgpr120_vgpr121
                                        ; implicit-def: $vgpr124_vgpr125
                                        ; implicit-def: $vgpr128_vgpr129
                                        ; implicit-def: $vgpr132_vgpr133
                                        ; implicit-def: $vgpr152_vgpr153
                                        ; implicit-def: $vgpr148_vgpr149
                                        ; implicit-def: $vgpr144_vgpr145
                                        ; implicit-def: $vgpr0_vgpr1
	s_and_saveexec_b64 s[0:1], vcc
	s_cbranch_execz .LBB0_5
; %bb.4:
	ds_read_b128 v[0:3], v107 offset:272
	ds_read_b128 v[136:139], v107 offset:656
	;; [unrolled: 1-line block ×17, first 2 shown]
.LBB0_5:
	s_or_b64 exec, exec, s[0:1]
	v_add_co_u32_e64 v88, s[0:1], 17, v158
	buffer_store_dword v88, off, s[60:63], 0 offset:504 ; 4-byte Folded Spill
	s_waitcnt lgkmcnt(0)
	v_add_f64 v[88:89], v[76:77], v[80:81]
	v_add_f64 v[90:91], v[78:79], v[82:83]
	v_add_f64 v[160:161], v[82:83], -v[86:87]
	s_mov_b32 s34, 0x5d8e7cdc
	s_mov_b32 s35, 0xbfd71e95
	v_add_f64 v[105:106], v[80:81], v[84:85]
	s_mov_b32 s0, 0x370991
	s_mov_b32 s1, 0x3fedd6d0
	v_add_f64 v[88:89], v[88:89], v[68:69]
	v_add_f64 v[90:91], v[90:91], v[70:71]
	;; [unrolled: 1-line block ×3, first 2 shown]
	s_mov_b32 s40, 0x2a9d6da3
	s_mov_b32 s38, 0xeb564b22
	;; [unrolled: 1-line block ×4, first 2 shown]
	v_mul_f64 v[92:93], v[160:161], s[38:39]
	v_add_f64 v[88:89], v[88:89], v[60:61]
	v_add_f64 v[90:91], v[90:91], v[62:63]
	s_mov_b32 s16, 0x75d4884
	s_mov_b32 s14, 0x3259b75e
	;; [unrolled: 1-line block ×5, first 2 shown]
	v_fma_f64 v[94:95], v[105:106], s[14:15], -v[92:93]
	v_add_f64 v[88:89], v[88:89], v[52:53]
	v_add_f64 v[90:91], v[90:91], v[54:55]
	v_fma_f64 v[92:93], v[105:106], s[14:15], v[92:93]
	s_mov_b32 s26, 0x923c349f
	s_mov_b32 s28, 0x6c9a05f6
	;; [unrolled: 1-line block ×4, first 2 shown]
	v_add_f64 v[168:169], v[76:77], v[94:95]
	v_add_f64 v[88:89], v[88:89], v[44:45]
	;; [unrolled: 1-line block ×3, first 2 shown]
	s_mov_b32 s45, 0xbfeca52d
	s_mov_b32 s27, 0xbfeec746
	;; [unrolled: 1-line block ×5, first 2 shown]
	v_add_f64 v[172:173], v[76:77], v[92:93]
	v_add_f64 v[88:89], v[88:89], v[36:37]
	;; [unrolled: 1-line block ×3, first 2 shown]
	v_mul_f64 v[178:179], v[160:161], s[28:29]
	v_mul_f64 v[186:187], v[160:161], s[30:31]
	s_mov_b32 s12, 0x2b2883cd
	s_mov_b32 s18, 0xc61f0d01
	;; [unrolled: 1-line block ×4, first 2 shown]
	v_add_f64 v[88:89], v[88:89], v[28:29]
	v_add_f64 v[90:91], v[90:91], v[30:31]
	s_mov_b32 s24, 0x7faef3
	s_mov_b32 s13, 0x3fdc86fa
	;; [unrolled: 1-line block ×6, first 2 shown]
	v_add_f64 v[88:89], v[88:89], v[20:21]
	v_add_f64 v[90:91], v[90:91], v[22:23]
	v_fma_f64 v[180:181], v[105:106], s[22:23], -v[178:179]
	v_fma_f64 v[178:179], v[105:106], s[22:23], v[178:179]
	v_fma_f64 v[188:189], v[105:106], s[20:21], -v[186:187]
	v_fma_f64 v[186:187], v[105:106], s[20:21], v[186:187]
	s_mov_b32 s55, 0x3fe0d888
	s_mov_b32 s54, s30
	v_add_f64 v[88:89], v[88:89], v[24:25]
	v_add_f64 v[90:91], v[90:91], v[26:27]
	;; [unrolled: 1-line block ×6, first 2 shown]
	s_mov_b32 s53, 0x3feec746
	s_mov_b32 s52, s26
	v_add_f64 v[88:89], v[88:89], v[32:33]
	v_add_f64 v[90:91], v[90:91], v[34:35]
	s_mov_b32 s37, 0x3feca52d
	s_mov_b32 s36, s44
	;; [unrolled: 1-line block ×6, first 2 shown]
	v_add_f64 v[88:89], v[88:89], v[40:41]
	v_add_f64 v[90:91], v[90:91], v[42:43]
	s_mov_b32 s49, 0x3fe58eea
	s_mov_b32 s48, s40
	;; [unrolled: 1-line block ×6, first 2 shown]
	v_add_f64 v[88:89], v[88:89], v[48:49]
	v_add_f64 v[90:91], v[90:91], v[50:51]
	;; [unrolled: 1-line block ×10, first 2 shown]
	v_add_f64 v[244:245], v[6:7], -v[110:111]
	v_add_f64 v[238:239], v[4:5], -v[108:109]
	v_add_f64 v[206:207], v[4:5], v[108:109]
	v_add_f64 v[208:209], v[6:7], v[110:111]
	;; [unrolled: 1-line block ×4, first 2 shown]
	v_mul_f64 v[224:225], v[244:245], s[38:39]
	v_mul_f64 v[252:253], v[238:239], s[38:39]
	v_add_f64 v[88:89], v[88:89], v[72:73]
	v_add_f64 v[90:91], v[90:91], v[74:75]
	;; [unrolled: 1-line block ×4, first 2 shown]
	buffer_store_dword v88, off, s[60:63], 0 offset:520 ; 4-byte Folded Spill
	s_nop 0
	buffer_store_dword v89, off, s[60:63], 0 offset:524 ; 4-byte Folded Spill
	buffer_store_dword v90, off, s[60:63], 0 offset:528 ; 4-byte Folded Spill
	;; [unrolled: 1-line block ×3, first 2 shown]
	buffer_store_dword v158, off, s[60:63], 0 ; 4-byte Folded Spill
	v_add_f64 v[158:159], v[80:81], -v[84:85]
	v_mul_f64 v[80:81], v[160:161], s[34:35]
	v_mul_f64 v[94:95], v[158:159], s[38:39]
	v_fma_f64 v[82:83], v[105:106], s[0:1], -v[80:81]
	v_fma_f64 v[80:81], v[105:106], s[0:1], v[80:81]
	v_mul_f64 v[182:183], v[158:159], s[28:29]
	v_mul_f64 v[190:191], v[158:159], s[30:31]
	v_fma_f64 v[96:97], v[156:157], s[14:15], v[94:95]
	v_add_f64 v[162:163], v[76:77], v[82:83]
	v_mul_f64 v[82:83], v[158:159], s[34:35]
	v_add_f64 v[88:89], v[76:77], v[80:81]
	v_fma_f64 v[92:93], v[156:157], s[14:15], -v[94:95]
	v_mul_f64 v[94:95], v[160:161], s[26:27]
	v_fma_f64 v[184:185], v[156:157], s[22:23], v[182:183]
	v_fma_f64 v[182:183], v[156:157], s[22:23], -v[182:183]
	v_add_f64 v[170:171], v[78:79], v[96:97]
	v_mul_f64 v[97:98], v[158:159], s[26:27]
	v_fma_f64 v[80:81], v[156:157], s[0:1], -v[82:83]
	v_fma_f64 v[84:85], v[156:157], s[0:1], v[82:83]
	v_add_f64 v[174:175], v[78:79], v[92:93]
	v_fma_f64 v[92:93], v[105:106], s[18:19], -v[94:95]
	v_fma_f64 v[94:95], v[105:106], s[18:19], v[94:95]
	v_fma_f64 v[192:193], v[156:157], s[20:21], v[190:191]
	v_fma_f64 v[190:191], v[156:157], s[20:21], -v[190:191]
	v_add_f64 v[184:185], v[78:79], v[184:185]
	v_add_f64 v[90:91], v[78:79], v[80:81]
	v_mul_f64 v[80:81], v[160:161], s[40:41]
	v_add_f64 v[86:87], v[78:79], v[84:85]
	v_add_f64 v[176:177], v[76:77], v[92:93]
	v_fma_f64 v[92:93], v[156:157], s[18:19], v[97:98]
	v_add_f64 v[95:96], v[76:77], v[94:95]
	v_fma_f64 v[97:98], v[156:157], s[18:19], -v[97:98]
	v_add_f64 v[182:183], v[78:79], v[182:183]
	v_add_f64 v[192:193], v[78:79], v[192:193]
	v_fma_f64 v[82:83], v[105:106], s[16:17], -v[80:81]
	v_fma_f64 v[80:81], v[105:106], s[16:17], v[80:81]
	v_add_f64 v[190:191], v[78:79], v[190:191]
	v_add_f64 v[92:93], v[78:79], v[92:93]
	;; [unrolled: 1-line block ×4, first 2 shown]
	v_mul_f64 v[82:83], v[158:159], s[40:41]
	v_add_f64 v[101:102], v[76:77], v[80:81]
	v_fma_f64 v[84:85], v[156:157], s[16:17], v[82:83]
	v_fma_f64 v[80:81], v[156:157], s[16:17], -v[82:83]
	v_mul_f64 v[82:83], v[160:161], s[44:45]
	v_mul_f64 v[160:161], v[160:161], s[42:43]
	v_add_f64 v[99:100], v[78:79], v[84:85]
	v_add_f64 v[103:104], v[78:79], v[80:81]
	v_fma_f64 v[80:81], v[105:106], s[12:13], -v[82:83]
	v_mul_f64 v[84:85], v[158:159], s[44:45]
	v_fma_f64 v[82:83], v[105:106], s[12:13], v[82:83]
	v_fma_f64 v[194:195], v[105:106], s[24:25], -v[160:161]
	v_mul_f64 v[158:159], v[158:159], s[42:43]
	v_fma_f64 v[105:106], v[105:106], s[24:25], v[160:161]
	v_add_f64 v[166:167], v[76:77], v[80:81]
	v_fma_f64 v[80:81], v[156:157], s[12:13], v[84:85]
	v_add_f64 v[82:83], v[76:77], v[82:83]
	v_fma_f64 v[84:85], v[156:157], s[12:13], -v[84:85]
	v_add_f64 v[194:195], v[76:77], v[194:195]
	v_fma_f64 v[196:197], v[156:157], s[24:25], v[158:159]
	v_add_f64 v[76:77], v[76:77], v[105:106]
	v_fma_f64 v[105:106], v[156:157], s[24:25], -v[158:159]
	v_add_f64 v[156:157], v[70:71], v[74:75]
	v_add_f64 v[70:71], v[70:71], -v[74:75]
	v_add_f64 v[80:81], v[78:79], v[80:81]
	v_add_f64 v[84:85], v[78:79], v[84:85]
	;; [unrolled: 1-line block ×5, first 2 shown]
	v_add_f64 v[68:69], v[68:69], -v[72:73]
	v_mul_f64 v[72:73], v[70:71], s[40:41]
	v_mul_f64 v[158:159], v[68:69], s[40:41]
	v_fma_f64 v[74:75], v[105:106], s[16:17], -v[72:73]
	v_fma_f64 v[72:73], v[105:106], s[16:17], v[72:73]
	v_fma_f64 v[160:161], v[156:157], s[16:17], v[158:159]
	v_add_f64 v[74:75], v[74:75], v[162:163]
	v_add_f64 v[72:73], v[72:73], v[88:89]
	v_fma_f64 v[88:89], v[156:157], s[16:17], -v[158:159]
	v_add_f64 v[86:87], v[160:161], v[86:87]
	v_mul_f64 v[160:161], v[68:69], s[38:39]
	v_add_f64 v[88:89], v[88:89], v[90:91]
	v_mul_f64 v[90:91], v[70:71], s[38:39]
	v_fma_f64 v[162:163], v[156:157], s[14:15], v[160:161]
	v_fma_f64 v[158:159], v[105:106], s[14:15], -v[90:91]
	v_fma_f64 v[90:91], v[105:106], s[14:15], v[90:91]
	v_add_f64 v[99:100], v[162:163], v[99:100]
	v_mul_f64 v[162:163], v[68:69], s[28:29]
	v_add_f64 v[158:159], v[158:159], v[164:165]
	v_add_f64 v[90:91], v[90:91], v[101:102]
	v_fma_f64 v[101:102], v[156:157], s[14:15], -v[160:161]
	v_fma_f64 v[164:165], v[156:157], s[22:23], v[162:163]
	v_add_f64 v[101:102], v[101:102], v[103:104]
	v_mul_f64 v[103:104], v[70:71], s[28:29]
	v_add_f64 v[80:81], v[164:165], v[80:81]
	v_mul_f64 v[164:165], v[68:69], s[42:43]
	v_fma_f64 v[160:161], v[105:106], s[22:23], -v[103:104]
	v_fma_f64 v[103:104], v[105:106], s[22:23], v[103:104]
	v_add_f64 v[160:161], v[160:161], v[166:167]
	v_add_f64 v[82:83], v[103:104], v[82:83]
	v_fma_f64 v[103:104], v[156:157], s[22:23], -v[162:163]
	v_fma_f64 v[166:167], v[156:157], s[24:25], v[164:165]
	v_fma_f64 v[164:165], v[156:157], s[24:25], -v[164:165]
	v_add_f64 v[84:85], v[103:104], v[84:85]
	v_mul_f64 v[103:104], v[70:71], s[42:43]
	v_add_f64 v[166:167], v[166:167], v[170:171]
	v_add_f64 v[164:165], v[164:165], v[174:175]
	v_fma_f64 v[162:163], v[105:106], s[24:25], -v[103:104]
	v_fma_f64 v[103:104], v[105:106], s[24:25], v[103:104]
	v_add_f64 v[162:163], v[162:163], v[168:169]
	v_mul_f64 v[168:169], v[70:71], s[54:55]
	v_add_f64 v[103:104], v[103:104], v[172:173]
	v_mul_f64 v[172:173], v[68:69], s[54:55]
	v_fma_f64 v[170:171], v[105:106], s[20:21], -v[168:169]
	v_fma_f64 v[168:169], v[105:106], s[20:21], v[168:169]
	v_fma_f64 v[174:175], v[156:157], s[20:21], v[172:173]
	v_add_f64 v[170:171], v[170:171], v[176:177]
	v_add_f64 v[94:95], v[168:169], v[95:96]
	v_fma_f64 v[168:169], v[156:157], s[20:21], -v[172:173]
	v_add_f64 v[92:93], v[174:175], v[92:93]
	v_mul_f64 v[174:175], v[68:69], s[52:53]
	v_add_f64 v[96:97], v[168:169], v[97:98]
	v_mul_f64 v[168:169], v[70:71], s[52:53]
	v_fma_f64 v[176:177], v[156:157], s[18:19], v[174:175]
	v_fma_f64 v[174:175], v[156:157], s[18:19], -v[174:175]
	v_fma_f64 v[172:173], v[105:106], s[18:19], -v[168:169]
	v_fma_f64 v[168:169], v[105:106], s[18:19], v[168:169]
	v_add_f64 v[174:175], v[174:175], v[182:183]
	v_mul_f64 v[182:183], v[68:69], s[36:37]
	v_mul_f64 v[68:69], v[68:69], s[46:47]
	v_add_f64 v[176:177], v[176:177], v[184:185]
	v_add_f64 v[172:173], v[172:173], v[180:181]
	v_add_f64 v[168:169], v[168:169], v[178:179]
	v_mul_f64 v[178:179], v[70:71], s[36:37]
	v_mul_f64 v[70:71], v[70:71], s[46:47]
	v_fma_f64 v[184:185], v[156:157], s[12:13], v[182:183]
	v_fma_f64 v[182:183], v[156:157], s[12:13], -v[182:183]
	v_fma_f64 v[180:181], v[105:106], s[12:13], -v[178:179]
	v_fma_f64 v[178:179], v[105:106], s[12:13], v[178:179]
	v_add_f64 v[184:185], v[184:185], v[192:193]
	v_add_f64 v[182:183], v[182:183], v[190:191]
	;; [unrolled: 1-line block ×3, first 2 shown]
	v_fma_f64 v[188:189], v[156:157], s[0:1], v[68:69]
	v_fma_f64 v[68:69], v[156:157], s[0:1], -v[68:69]
	v_add_f64 v[178:179], v[178:179], v[186:187]
	v_fma_f64 v[186:187], v[105:106], s[0:1], -v[70:71]
	v_fma_f64 v[70:71], v[105:106], s[0:1], v[70:71]
	v_add_f64 v[188:189], v[188:189], v[196:197]
	v_add_f64 v[68:69], v[68:69], v[78:79]
	;; [unrolled: 1-line block ×3, first 2 shown]
	v_add_f64 v[62:63], v[62:63], -v[66:67]
	v_add_f64 v[70:71], v[70:71], v[76:77]
	v_add_f64 v[76:77], v[60:61], v[64:65]
	v_add_f64 v[60:61], v[60:61], -v[64:65]
	v_add_f64 v[186:187], v[186:187], v[194:195]
	v_mul_f64 v[64:65], v[62:63], s[44:45]
	v_fma_f64 v[66:67], v[76:77], s[12:13], -v[64:65]
	v_fma_f64 v[64:65], v[76:77], s[12:13], v[64:65]
	v_add_f64 v[66:67], v[66:67], v[74:75]
	v_mul_f64 v[74:75], v[60:61], s[44:45]
	v_add_f64 v[64:65], v[64:65], v[72:73]
	v_fma_f64 v[105:106], v[78:79], s[12:13], v[74:75]
	v_fma_f64 v[72:73], v[78:79], s[12:13], -v[74:75]
	v_mul_f64 v[74:75], v[62:63], s[28:29]
	v_add_f64 v[86:87], v[105:106], v[86:87]
	v_add_f64 v[72:73], v[72:73], v[88:89]
	v_fma_f64 v[88:89], v[76:77], s[22:23], -v[74:75]
	v_mul_f64 v[105:106], v[60:61], s[28:29]
	v_fma_f64 v[74:75], v[76:77], s[22:23], v[74:75]
	v_add_f64 v[88:89], v[88:89], v[158:159]
	v_fma_f64 v[156:157], v[78:79], s[22:23], v[105:106]
	v_add_f64 v[74:75], v[74:75], v[90:91]
	v_fma_f64 v[90:91], v[78:79], s[22:23], -v[105:106]
	v_add_f64 v[98:99], v[156:157], v[99:100]
	v_mul_f64 v[156:157], v[60:61], s[58:59]
	v_add_f64 v[90:91], v[90:91], v[101:102]
	v_mul_f64 v[100:101], v[62:63], s[58:59]
	v_fma_f64 v[158:159], v[78:79], s[24:25], v[156:157]
	v_fma_f64 v[105:106], v[76:77], s[24:25], -v[100:101]
	v_fma_f64 v[100:101], v[76:77], s[24:25], v[100:101]
	v_add_f64 v[80:81], v[158:159], v[80:81]
	v_mul_f64 v[158:159], v[60:61], s[52:53]
	v_add_f64 v[105:106], v[105:106], v[160:161]
	v_add_f64 v[82:83], v[100:101], v[82:83]
	v_fma_f64 v[100:101], v[78:79], s[24:25], -v[156:157]
	v_fma_f64 v[160:161], v[78:79], s[18:19], v[158:159]
	v_add_f64 v[84:85], v[100:101], v[84:85]
	v_mul_f64 v[100:101], v[62:63], s[52:53]
	v_add_f64 v[160:161], v[160:161], v[166:167]
	v_fma_f64 v[156:157], v[76:77], s[18:19], -v[100:101]
	v_fma_f64 v[100:101], v[76:77], s[18:19], v[100:101]
	v_add_f64 v[156:157], v[156:157], v[162:163]
	v_add_f64 v[100:101], v[100:101], v[103:104]
	v_fma_f64 v[102:103], v[78:79], s[18:19], -v[158:159]
	v_mul_f64 v[158:159], v[62:63], s[48:49]
	v_add_f64 v[102:103], v[102:103], v[164:165]
	v_fma_f64 v[162:163], v[76:77], s[16:17], -v[158:159]
	v_mul_f64 v[164:165], v[60:61], s[48:49]
	v_fma_f64 v[158:159], v[76:77], s[16:17], v[158:159]
	v_add_f64 v[162:163], v[162:163], v[170:171]
	v_fma_f64 v[166:167], v[78:79], s[16:17], v[164:165]
	v_add_f64 v[94:95], v[158:159], v[94:95]
	v_fma_f64 v[158:159], v[78:79], s[16:17], -v[164:165]
	v_add_f64 v[92:93], v[166:167], v[92:93]
	v_mul_f64 v[166:167], v[60:61], s[34:35]
	v_add_f64 v[96:97], v[158:159], v[96:97]
	v_mul_f64 v[158:159], v[62:63], s[34:35]
	v_fma_f64 v[170:171], v[78:79], s[0:1], v[166:167]
	v_fma_f64 v[166:167], v[78:79], s[0:1], -v[166:167]
	v_fma_f64 v[164:165], v[76:77], s[0:1], -v[158:159]
	v_fma_f64 v[158:159], v[76:77], s[0:1], v[158:159]
	v_add_f64 v[170:171], v[170:171], v[176:177]
	v_add_f64 v[166:167], v[166:167], v[174:175]
	;; [unrolled: 1-line block ×4, first 2 shown]
	v_mul_f64 v[168:169], v[62:63], s[38:39]
	v_mul_f64 v[62:63], v[62:63], s[30:31]
	;; [unrolled: 1-line block ×4, first 2 shown]
	v_fma_f64 v[172:173], v[76:77], s[14:15], -v[168:169]
	v_fma_f64 v[168:169], v[76:77], s[14:15], v[168:169]
	v_fma_f64 v[176:177], v[78:79], s[14:15], v[174:175]
	v_fma_f64 v[174:175], v[78:79], s[14:15], -v[174:175]
	v_add_f64 v[172:173], v[172:173], v[180:181]
	v_add_f64 v[168:169], v[168:169], v[178:179]
	v_fma_f64 v[178:179], v[76:77], s[20:21], -v[62:63]
	v_fma_f64 v[62:63], v[76:77], s[20:21], v[62:63]
	v_fma_f64 v[180:181], v[78:79], s[20:21], v[60:61]
	v_fma_f64 v[60:61], v[78:79], s[20:21], -v[60:61]
	v_add_f64 v[176:177], v[176:177], v[184:185]
	v_add_f64 v[174:175], v[174:175], v[182:183]
	v_add_f64 v[178:179], v[178:179], v[186:187]
	v_add_f64 v[62:63], v[62:63], v[70:71]
	v_add_f64 v[70:71], v[54:55], v[58:59]
	v_add_f64 v[54:55], v[54:55], -v[58:59]
	v_add_f64 v[60:61], v[60:61], v[68:69]
	v_add_f64 v[68:69], v[52:53], v[56:57]
	v_add_f64 v[52:53], v[52:53], -v[56:57]
	v_add_f64 v[180:181], v[180:181], v[188:189]
	v_add_f64 v[188:189], v[22:23], -v[26:27]
	v_mul_f64 v[56:57], v[54:55], s[38:39]
	v_mul_f64 v[78:79], v[52:53], s[42:43]
	v_fma_f64 v[58:59], v[68:69], s[14:15], -v[56:57]
	v_fma_f64 v[56:57], v[68:69], s[14:15], v[56:57]
	v_add_f64 v[58:59], v[58:59], v[66:67]
	v_mul_f64 v[66:67], v[52:53], s[38:39]
	v_add_f64 v[56:57], v[56:57], v[64:65]
	v_fma_f64 v[76:77], v[70:71], s[14:15], v[66:67]
	v_fma_f64 v[64:65], v[70:71], s[14:15], -v[66:67]
	v_mul_f64 v[66:67], v[54:55], s[42:43]
	v_add_f64 v[76:77], v[76:77], v[86:87]
	v_add_f64 v[64:65], v[64:65], v[72:73]
	v_fma_f64 v[72:73], v[68:69], s[24:25], -v[66:67]
	v_fma_f64 v[66:67], v[68:69], s[24:25], v[66:67]
	v_fma_f64 v[86:87], v[70:71], s[24:25], v[78:79]
	v_add_f64 v[72:73], v[72:73], v[88:89]
	v_add_f64 v[66:67], v[66:67], v[74:75]
	v_fma_f64 v[74:75], v[70:71], s[24:25], -v[78:79]
	v_mul_f64 v[78:79], v[54:55], s[52:53]
	v_add_f64 v[86:87], v[86:87], v[98:99]
	v_add_f64 v[74:75], v[74:75], v[90:91]
	v_fma_f64 v[88:89], v[68:69], s[18:19], -v[78:79]
	v_mul_f64 v[90:91], v[52:53], s[52:53]
	v_fma_f64 v[78:79], v[68:69], s[18:19], v[78:79]
	v_add_f64 v[88:89], v[88:89], v[105:106]
	v_fma_f64 v[98:99], v[70:71], s[18:19], v[90:91]
	v_add_f64 v[78:79], v[78:79], v[82:83]
	v_fma_f64 v[82:83], v[70:71], s[18:19], -v[90:91]
	v_add_f64 v[80:81], v[98:99], v[80:81]
	v_mul_f64 v[98:99], v[52:53], s[46:47]
	v_add_f64 v[82:83], v[82:83], v[84:85]
	v_mul_f64 v[84:85], v[54:55], s[46:47]
	v_fma_f64 v[104:105], v[70:71], s[0:1], v[98:99]
	v_fma_f64 v[98:99], v[70:71], s[0:1], -v[98:99]
	v_fma_f64 v[90:91], v[68:69], s[0:1], -v[84:85]
	v_fma_f64 v[84:85], v[68:69], s[0:1], v[84:85]
	v_add_f64 v[104:105], v[104:105], v[160:161]
	v_add_f64 v[98:99], v[98:99], v[102:103]
	;; [unrolled: 1-line block ×4, first 2 shown]
	v_mul_f64 v[100:101], v[54:55], s[44:45]
	v_mul_f64 v[156:157], v[52:53], s[44:45]
	v_fma_f64 v[102:103], v[68:69], s[12:13], -v[100:101]
	v_fma_f64 v[100:101], v[68:69], s[12:13], v[100:101]
	v_fma_f64 v[160:161], v[70:71], s[12:13], v[156:157]
	v_add_f64 v[102:103], v[102:103], v[162:163]
	v_add_f64 v[94:95], v[100:101], v[94:95]
	v_fma_f64 v[100:101], v[70:71], s[12:13], -v[156:157]
	v_add_f64 v[92:93], v[160:161], v[92:93]
	v_mul_f64 v[160:161], v[52:53], s[30:31]
	v_add_f64 v[96:97], v[100:101], v[96:97]
	v_mul_f64 v[100:101], v[54:55], s[30:31]
	v_fma_f64 v[162:163], v[70:71], s[20:21], v[160:161]
	v_fma_f64 v[156:157], v[68:69], s[20:21], -v[100:101]
	v_fma_f64 v[100:101], v[68:69], s[20:21], v[100:101]
	v_add_f64 v[162:163], v[162:163], v[170:171]
	v_add_f64 v[156:157], v[156:157], v[164:165]
	;; [unrolled: 1-line block ×3, first 2 shown]
	v_fma_f64 v[158:159], v[70:71], s[20:21], -v[160:161]
	v_mul_f64 v[160:161], v[54:55], s[56:57]
	v_mul_f64 v[54:55], v[54:55], s[48:49]
	v_add_f64 v[158:159], v[158:159], v[166:167]
	v_fma_f64 v[164:165], v[68:69], s[22:23], -v[160:161]
	v_fma_f64 v[160:161], v[68:69], s[22:23], v[160:161]
	v_mul_f64 v[166:167], v[52:53], s[56:57]
	v_mul_f64 v[52:53], v[52:53], s[48:49]
	v_add_f64 v[164:165], v[164:165], v[172:173]
	v_add_f64 v[160:161], v[160:161], v[168:169]
	v_fma_f64 v[168:169], v[68:69], s[16:17], -v[54:55]
	v_fma_f64 v[54:55], v[68:69], s[16:17], v[54:55]
	v_fma_f64 v[172:173], v[70:71], s[16:17], v[52:53]
	v_fma_f64 v[52:53], v[70:71], s[16:17], -v[52:53]
	v_fma_f64 v[170:171], v[70:71], s[22:23], v[166:167]
	v_fma_f64 v[166:167], v[70:71], s[22:23], -v[166:167]
	v_add_f64 v[168:169], v[168:169], v[178:179]
	v_add_f64 v[54:55], v[54:55], v[62:63]
	;; [unrolled: 1-line block ×3, first 2 shown]
	v_add_f64 v[46:47], v[46:47], -v[50:51]
	v_add_f64 v[52:53], v[52:53], v[60:61]
	v_add_f64 v[60:61], v[44:45], v[48:49]
	v_add_f64 v[44:45], v[44:45], -v[48:49]
	v_add_f64 v[170:171], v[170:171], v[176:177]
	v_add_f64 v[166:167], v[166:167], v[174:175]
	;; [unrolled: 1-line block ×3, first 2 shown]
	v_mul_f64 v[48:49], v[46:47], s[26:27]
	v_mul_f64 v[70:71], v[44:45], s[54:55]
	v_fma_f64 v[50:51], v[60:61], s[18:19], -v[48:49]
	v_fma_f64 v[48:49], v[60:61], s[18:19], v[48:49]
	v_add_f64 v[50:51], v[50:51], v[58:59]
	v_mul_f64 v[58:59], v[44:45], s[26:27]
	v_add_f64 v[48:49], v[48:49], v[56:57]
	v_fma_f64 v[68:69], v[62:63], s[18:19], v[58:59]
	v_fma_f64 v[56:57], v[62:63], s[18:19], -v[58:59]
	v_mul_f64 v[58:59], v[46:47], s[54:55]
	v_add_f64 v[68:69], v[68:69], v[76:77]
	v_add_f64 v[56:57], v[56:57], v[64:65]
	v_fma_f64 v[64:65], v[60:61], s[20:21], -v[58:59]
	v_fma_f64 v[58:59], v[60:61], s[20:21], v[58:59]
	v_mul_f64 v[76:77], v[44:45], s[48:49]
	v_add_f64 v[64:65], v[64:65], v[72:73]
	v_fma_f64 v[72:73], v[62:63], s[20:21], v[70:71]
	v_add_f64 v[58:59], v[58:59], v[66:67]
	v_fma_f64 v[66:67], v[62:63], s[20:21], -v[70:71]
	v_mul_f64 v[70:71], v[46:47], s[48:49]
	v_add_f64 v[72:73], v[72:73], v[86:87]
	v_fma_f64 v[86:87], v[62:63], s[16:17], v[76:77]
	v_add_f64 v[66:67], v[66:67], v[74:75]
	v_fma_f64 v[74:75], v[60:61], s[16:17], -v[70:71]
	v_fma_f64 v[70:71], v[60:61], s[16:17], v[70:71]
	v_fma_f64 v[76:77], v[62:63], s[16:17], -v[76:77]
	v_add_f64 v[80:81], v[86:87], v[80:81]
	v_mul_f64 v[86:87], v[44:45], s[44:45]
	v_add_f64 v[74:75], v[74:75], v[88:89]
	v_add_f64 v[70:71], v[70:71], v[78:79]
	v_mul_f64 v[78:79], v[46:47], s[44:45]
	v_add_f64 v[76:77], v[76:77], v[82:83]
	v_fma_f64 v[88:89], v[62:63], s[12:13], v[86:87]
	v_fma_f64 v[82:83], v[60:61], s[12:13], -v[78:79]
	v_fma_f64 v[78:79], v[60:61], s[12:13], v[78:79]
	v_add_f64 v[88:89], v[88:89], v[104:105]
	v_add_f64 v[82:83], v[82:83], v[90:91]
	;; [unrolled: 1-line block ×3, first 2 shown]
	v_fma_f64 v[84:85], v[62:63], s[12:13], -v[86:87]
	v_mul_f64 v[86:87], v[46:47], s[42:43]
	v_add_f64 v[84:85], v[84:85], v[98:99]
	v_fma_f64 v[90:91], v[60:61], s[24:25], -v[86:87]
	v_mul_f64 v[98:99], v[44:45], s[42:43]
	v_fma_f64 v[86:87], v[60:61], s[24:25], v[86:87]
	v_add_f64 v[90:91], v[90:91], v[102:103]
	v_fma_f64 v[102:103], v[62:63], s[24:25], v[98:99]
	v_add_f64 v[86:87], v[86:87], v[94:95]
	v_fma_f64 v[94:95], v[62:63], s[24:25], -v[98:99]
	v_add_f64 v[92:93], v[102:103], v[92:93]
	v_mul_f64 v[102:103], v[44:45], s[50:51]
	v_add_f64 v[94:95], v[94:95], v[96:97]
	v_mul_f64 v[96:97], v[46:47], s[50:51]
	v_fma_f64 v[104:105], v[62:63], s[14:15], v[102:103]
	v_fma_f64 v[98:99], v[60:61], s[14:15], -v[96:97]
	v_fma_f64 v[96:97], v[60:61], s[14:15], v[96:97]
	v_add_f64 v[104:105], v[104:105], v[162:163]
	v_add_f64 v[98:99], v[98:99], v[156:157]
	;; [unrolled: 1-line block ×3, first 2 shown]
	v_fma_f64 v[100:101], v[62:63], s[14:15], -v[102:103]
	v_mul_f64 v[102:103], v[46:47], s[34:35]
	v_mul_f64 v[46:47], v[46:47], s[28:29]
	v_add_f64 v[100:101], v[100:101], v[158:159]
	v_fma_f64 v[156:157], v[60:61], s[0:1], -v[102:103]
	v_fma_f64 v[102:103], v[60:61], s[0:1], v[102:103]
	v_mul_f64 v[158:159], v[44:45], s[34:35]
	v_mul_f64 v[44:45], v[44:45], s[28:29]
	v_add_f64 v[156:157], v[156:157], v[164:165]
	v_add_f64 v[102:103], v[102:103], v[160:161]
	v_fma_f64 v[160:161], v[60:61], s[22:23], -v[46:47]
	v_fma_f64 v[46:47], v[60:61], s[22:23], v[46:47]
	v_fma_f64 v[164:165], v[62:63], s[22:23], v[44:45]
	v_fma_f64 v[44:45], v[62:63], s[22:23], -v[44:45]
	v_fma_f64 v[162:163], v[62:63], s[0:1], v[158:159]
	v_fma_f64 v[158:159], v[62:63], s[0:1], -v[158:159]
	v_add_f64 v[160:161], v[160:161], v[168:169]
	v_add_f64 v[46:47], v[46:47], v[54:55]
	;; [unrolled: 1-line block ×3, first 2 shown]
	v_add_f64 v[38:39], v[38:39], -v[42:43]
	v_add_f64 v[44:45], v[44:45], v[52:53]
	v_add_f64 v[52:53], v[36:37], v[40:41]
	v_add_f64 v[36:37], v[36:37], -v[40:41]
	v_add_f64 v[162:163], v[162:163], v[170:171]
	v_add_f64 v[158:159], v[158:159], v[166:167]
	;; [unrolled: 1-line block ×3, first 2 shown]
	v_mul_f64 v[40:41], v[38:39], s[28:29]
	v_mul_f64 v[62:63], v[36:37], s[52:53]
	v_fma_f64 v[42:43], v[52:53], s[22:23], -v[40:41]
	v_fma_f64 v[40:41], v[52:53], s[22:23], v[40:41]
	v_add_f64 v[42:43], v[42:43], v[50:51]
	v_mul_f64 v[50:51], v[36:37], s[28:29]
	v_add_f64 v[40:41], v[40:41], v[48:49]
	v_fma_f64 v[60:61], v[54:55], s[22:23], v[50:51]
	v_fma_f64 v[48:49], v[54:55], s[22:23], -v[50:51]
	v_mul_f64 v[50:51], v[38:39], s[52:53]
	v_add_f64 v[60:61], v[60:61], v[68:69]
	v_add_f64 v[48:49], v[48:49], v[56:57]
	v_fma_f64 v[56:57], v[52:53], s[18:19], -v[50:51]
	v_fma_f64 v[50:51], v[52:53], s[18:19], v[50:51]
	v_mul_f64 v[68:69], v[36:37], s[34:35]
	v_add_f64 v[56:57], v[56:57], v[64:65]
	v_fma_f64 v[64:65], v[54:55], s[18:19], v[62:63]
	v_add_f64 v[50:51], v[50:51], v[58:59]
	v_fma_f64 v[58:59], v[54:55], s[18:19], -v[62:63]
	v_mul_f64 v[62:63], v[38:39], s[34:35]
	v_add_f64 v[64:65], v[64:65], v[72:73]
	v_fma_f64 v[72:73], v[54:55], s[0:1], v[68:69]
	v_add_f64 v[58:59], v[58:59], v[66:67]
	v_fma_f64 v[66:67], v[52:53], s[0:1], -v[62:63]
	v_fma_f64 v[62:63], v[52:53], s[0:1], v[62:63]
	v_fma_f64 v[68:69], v[54:55], s[0:1], -v[68:69]
	v_add_f64 v[72:73], v[72:73], v[80:81]
	v_add_f64 v[66:67], v[66:67], v[74:75]
	;; [unrolled: 1-line block ×3, first 2 shown]
	v_mul_f64 v[70:71], v[38:39], s[30:31]
	v_add_f64 v[68:69], v[68:69], v[76:77]
	v_mul_f64 v[76:77], v[36:37], s[30:31]
	v_fma_f64 v[74:75], v[52:53], s[20:21], -v[70:71]
	v_fma_f64 v[70:71], v[52:53], s[20:21], v[70:71]
	v_fma_f64 v[80:81], v[54:55], s[20:21], v[76:77]
	v_fma_f64 v[76:77], v[54:55], s[20:21], -v[76:77]
	v_add_f64 v[74:75], v[74:75], v[82:83]
	v_add_f64 v[70:71], v[70:71], v[78:79]
	v_mul_f64 v[78:79], v[38:39], s[50:51]
	v_add_f64 v[76:77], v[76:77], v[84:85]
	v_mul_f64 v[84:85], v[36:37], s[50:51]
	v_add_f64 v[80:81], v[80:81], v[88:89]
	v_fma_f64 v[82:83], v[52:53], s[14:15], -v[78:79]
	v_fma_f64 v[78:79], v[52:53], s[14:15], v[78:79]
	v_fma_f64 v[88:89], v[54:55], s[14:15], v[84:85]
	v_fma_f64 v[84:85], v[54:55], s[14:15], -v[84:85]
	v_add_f64 v[82:83], v[82:83], v[90:91]
	v_add_f64 v[78:79], v[78:79], v[86:87]
	v_mul_f64 v[86:87], v[38:39], s[40:41]
	v_add_f64 v[88:89], v[88:89], v[92:93]
	v_mul_f64 v[92:93], v[36:37], s[40:41]
	v_add_f64 v[84:85], v[84:85], v[94:95]
	v_fma_f64 v[90:91], v[52:53], s[16:17], -v[86:87]
	v_fma_f64 v[86:87], v[52:53], s[16:17], v[86:87]
	v_fma_f64 v[94:95], v[54:55], s[16:17], v[92:93]
	v_fma_f64 v[92:93], v[54:55], s[16:17], -v[92:93]
	v_add_f64 v[90:91], v[90:91], v[98:99]
	v_add_f64 v[86:87], v[86:87], v[96:97]
	v_mul_f64 v[96:97], v[38:39], s[42:43]
	v_mul_f64 v[38:39], v[38:39], s[36:37]
	v_add_f64 v[92:93], v[92:93], v[100:101]
	v_mul_f64 v[100:101], v[36:37], s[42:43]
	v_mul_f64 v[36:37], v[36:37], s[36:37]
	v_add_f64 v[94:95], v[94:95], v[104:105]
	v_fma_f64 v[98:99], v[52:53], s[24:25], -v[96:97]
	v_fma_f64 v[96:97], v[52:53], s[24:25], v[96:97]
	v_fma_f64 v[104:105], v[54:55], s[24:25], v[100:101]
	v_fma_f64 v[100:101], v[54:55], s[24:25], -v[100:101]
	v_add_f64 v[98:99], v[98:99], v[156:157]
	v_add_f64 v[96:97], v[96:97], v[102:103]
	v_fma_f64 v[102:103], v[52:53], s[12:13], -v[38:39]
	v_fma_f64 v[38:39], v[52:53], s[12:13], v[38:39]
	v_fma_f64 v[156:157], v[54:55], s[12:13], v[36:37]
	v_fma_f64 v[36:37], v[54:55], s[12:13], -v[36:37]
	v_add_f64 v[104:105], v[104:105], v[162:163]
	v_add_f64 v[100:101], v[100:101], v[158:159]
	v_add_f64 v[158:159], v[20:21], -v[24:25]
	v_add_f64 v[102:103], v[102:103], v[160:161]
	v_add_f64 v[38:39], v[38:39], v[46:47]
	;; [unrolled: 1-line block ×3, first 2 shown]
	v_add_f64 v[30:31], v[30:31], -v[34:35]
	v_add_f64 v[36:37], v[36:37], v[44:45]
	v_add_f64 v[44:45], v[28:29], v[32:33]
	v_add_f64 v[28:29], v[28:29], -v[32:33]
	v_add_f64 v[156:157], v[156:157], v[164:165]
	v_mul_f64 v[32:33], v[30:31], s[30:31]
	v_mul_f64 v[54:55], v[28:29], s[36:37]
	v_fma_f64 v[34:35], v[44:45], s[20:21], -v[32:33]
	v_fma_f64 v[32:33], v[44:45], s[20:21], v[32:33]
	v_add_f64 v[34:35], v[34:35], v[42:43]
	v_mul_f64 v[42:43], v[28:29], s[30:31]
	v_add_f64 v[32:33], v[32:33], v[40:41]
	v_fma_f64 v[52:53], v[46:47], s[20:21], v[42:43]
	v_fma_f64 v[40:41], v[46:47], s[20:21], -v[42:43]
	v_mul_f64 v[42:43], v[30:31], s[36:37]
	v_add_f64 v[52:53], v[52:53], v[60:61]
	v_add_f64 v[40:41], v[40:41], v[48:49]
	v_fma_f64 v[48:49], v[44:45], s[12:13], -v[42:43]
	v_fma_f64 v[42:43], v[44:45], s[12:13], v[42:43]
	v_mul_f64 v[60:61], v[28:29], s[38:39]
	v_add_f64 v[48:49], v[48:49], v[56:57]
	v_fma_f64 v[56:57], v[46:47], s[12:13], v[54:55]
	v_add_f64 v[42:43], v[42:43], v[50:51]
	v_fma_f64 v[50:51], v[46:47], s[12:13], -v[54:55]
	v_mul_f64 v[54:55], v[30:31], s[38:39]
	v_add_f64 v[56:57], v[56:57], v[64:65]
	v_fma_f64 v[64:65], v[46:47], s[14:15], v[60:61]
	v_add_f64 v[50:51], v[50:51], v[58:59]
	v_fma_f64 v[58:59], v[44:45], s[14:15], -v[54:55]
	v_fma_f64 v[54:55], v[44:45], s[14:15], v[54:55]
	v_fma_f64 v[60:61], v[46:47], s[14:15], -v[60:61]
	v_add_f64 v[64:65], v[64:65], v[72:73]
	v_add_f64 v[58:59], v[58:59], v[66:67]
	;; [unrolled: 1-line block ×3, first 2 shown]
	v_mul_f64 v[62:63], v[30:31], s[56:57]
	v_add_f64 v[60:61], v[60:61], v[68:69]
	v_mul_f64 v[68:69], v[28:29], s[56:57]
	v_fma_f64 v[66:67], v[44:45], s[22:23], -v[62:63]
	v_fma_f64 v[62:63], v[44:45], s[22:23], v[62:63]
	v_fma_f64 v[72:73], v[46:47], s[22:23], v[68:69]
	v_fma_f64 v[68:69], v[46:47], s[22:23], -v[68:69]
	v_add_f64 v[66:67], v[66:67], v[74:75]
	v_add_f64 v[62:63], v[62:63], v[70:71]
	v_mul_f64 v[70:71], v[30:31], s[34:35]
	v_add_f64 v[68:69], v[68:69], v[76:77]
	v_mul_f64 v[76:77], v[28:29], s[34:35]
	v_add_f64 v[72:73], v[72:73], v[80:81]
	v_fma_f64 v[74:75], v[44:45], s[0:1], -v[70:71]
	v_fma_f64 v[70:71], v[44:45], s[0:1], v[70:71]
	v_fma_f64 v[80:81], v[46:47], s[0:1], v[76:77]
	v_fma_f64 v[76:77], v[46:47], s[0:1], -v[76:77]
	v_add_f64 v[74:75], v[74:75], v[82:83]
	v_add_f64 v[70:71], v[70:71], v[78:79]
	v_mul_f64 v[78:79], v[30:31], s[42:43]
	v_add_f64 v[76:77], v[76:77], v[84:85]
	v_mul_f64 v[84:85], v[28:29], s[42:43]
	v_add_f64 v[80:81], v[80:81], v[88:89]
	v_fma_f64 v[82:83], v[44:45], s[24:25], -v[78:79]
	v_fma_f64 v[78:79], v[44:45], s[24:25], v[78:79]
	v_fma_f64 v[88:89], v[46:47], s[24:25], v[84:85]
	v_fma_f64 v[84:85], v[46:47], s[24:25], -v[84:85]
	v_add_f64 v[82:83], v[82:83], v[90:91]
	v_add_f64 v[78:79], v[78:79], v[86:87]
	v_mul_f64 v[86:87], v[30:31], s[48:49]
	v_add_f64 v[84:85], v[84:85], v[92:93]
	v_mul_f64 v[92:93], v[28:29], s[48:49]
	v_mul_f64 v[30:31], v[30:31], s[26:27]
	;; [unrolled: 1-line block ×3, first 2 shown]
	v_add_f64 v[88:89], v[88:89], v[94:95]
	v_fma_f64 v[90:91], v[44:45], s[16:17], -v[86:87]
	v_fma_f64 v[86:87], v[44:45], s[16:17], v[86:87]
	v_fma_f64 v[94:95], v[46:47], s[16:17], v[92:93]
	v_fma_f64 v[92:93], v[46:47], s[16:17], -v[92:93]
	v_add_f64 v[90:91], v[90:91], v[98:99]
	v_add_f64 v[86:87], v[86:87], v[96:97]
	v_fma_f64 v[96:97], v[44:45], s[18:19], -v[30:31]
	v_fma_f64 v[98:99], v[46:47], s[18:19], v[28:29]
	v_fma_f64 v[28:29], v[46:47], s[18:19], -v[28:29]
	v_add_f64 v[94:95], v[94:95], v[104:105]
	v_fma_f64 v[30:31], v[44:45], s[18:19], v[30:31]
	v_add_f64 v[104:105], v[20:21], v[24:25]
	v_mul_f64 v[20:21], v[188:189], s[42:43]
	v_add_f64 v[92:93], v[92:93], v[100:101]
	v_add_f64 v[96:97], v[96:97], v[102:103]
	v_add_f64 v[98:99], v[98:99], v[156:157]
	v_add_f64 v[102:103], v[28:29], v[36:37]
	v_mul_f64 v[28:29], v[188:189], s[46:47]
	v_add_f64 v[100:101], v[30:31], v[38:39]
	v_add_f64 v[156:157], v[22:23], v[26:27]
	v_fma_f64 v[22:23], v[104:105], s[24:25], -v[20:21]
	v_fma_f64 v[20:21], v[104:105], s[24:25], v[20:21]
	v_mul_f64 v[36:37], v[188:189], s[30:31]
	v_fma_f64 v[30:31], v[104:105], s[0:1], -v[28:29]
	v_fma_f64 v[28:29], v[104:105], s[0:1], v[28:29]
	v_add_f64 v[24:25], v[22:23], v[34:35]
	v_add_f64 v[20:21], v[20:21], v[32:33]
	v_mul_f64 v[22:23], v[158:159], s[42:43]
	v_fma_f64 v[38:39], v[104:105], s[20:21], -v[36:37]
	v_fma_f64 v[36:37], v[104:105], s[20:21], v[36:37]
	v_add_f64 v[32:33], v[30:31], v[48:49]
	v_mul_f64 v[30:31], v[158:159], s[46:47]
	v_mul_f64 v[48:49], v[188:189], s[28:29]
	v_add_f64 v[28:29], v[28:29], v[42:43]
	v_fma_f64 v[26:27], v[156:157], s[24:25], v[22:23]
	v_fma_f64 v[22:23], v[156:157], s[24:25], -v[22:23]
	v_add_f64 v[160:161], v[38:39], v[58:59]
	v_mul_f64 v[38:39], v[158:159], s[30:31]
	v_fma_f64 v[34:35], v[156:157], s[0:1], v[30:31]
	v_fma_f64 v[30:31], v[156:157], s[0:1], -v[30:31]
	v_add_f64 v[36:37], v[36:37], v[54:55]
	v_add_f64 v[54:55], v[136:137], v[132:133]
	;; [unrolled: 1-line block ×4, first 2 shown]
	v_fma_f64 v[40:41], v[156:157], s[20:21], v[38:39]
	v_fma_f64 v[38:39], v[156:157], s[20:21], -v[38:39]
	v_add_f64 v[30:31], v[30:31], v[50:51]
	v_fma_f64 v[50:51], v[104:105], s[22:23], -v[48:49]
	v_fma_f64 v[48:49], v[104:105], s[22:23], v[48:49]
	v_add_f64 v[34:35], v[34:35], v[56:57]
	v_add_f64 v[56:57], v[138:139], v[134:135]
	;; [unrolled: 1-line block ×3, first 2 shown]
	v_mul_f64 v[40:41], v[188:189], s[48:49]
	v_add_f64 v[38:39], v[38:39], v[60:61]
	v_add_f64 v[168:169], v[50:51], v[74:75]
	v_mul_f64 v[50:51], v[158:159], s[28:29]
	v_add_f64 v[164:165], v[48:49], v[70:71]
	v_fma_f64 v[42:43], v[104:105], s[16:17], -v[40:41]
	v_fma_f64 v[40:41], v[104:105], s[16:17], v[40:41]
	v_fma_f64 v[48:49], v[156:157], s[22:23], -v[50:51]
	v_fma_f64 v[52:53], v[156:157], s[22:23], v[50:51]
	v_add_f64 v[44:45], v[42:43], v[66:67]
	v_mul_f64 v[42:43], v[158:159], s[48:49]
	v_add_f64 v[40:41], v[40:41], v[62:63]
	v_add_f64 v[166:167], v[48:49], v[76:77]
	v_mul_f64 v[48:49], v[188:189], s[36:37]
	v_add_f64 v[170:171], v[52:53], v[80:81]
	v_fma_f64 v[46:47], v[156:157], s[16:17], v[42:43]
	v_fma_f64 v[42:43], v[156:157], s[16:17], -v[42:43]
	v_fma_f64 v[50:51], v[104:105], s[12:13], -v[48:49]
	v_fma_f64 v[48:49], v[104:105], s[12:13], v[48:49]
	v_add_f64 v[46:47], v[46:47], v[72:73]
	v_add_f64 v[42:43], v[42:43], v[68:69]
	;; [unrolled: 1-line block ×3, first 2 shown]
	v_mul_f64 v[50:51], v[158:159], s[36:37]
	v_add_f64 v[172:173], v[48:49], v[78:79]
	v_fma_f64 v[48:49], v[156:157], s[12:13], -v[50:51]
	v_fma_f64 v[52:53], v[156:157], s[12:13], v[50:51]
	v_add_f64 v[174:175], v[48:49], v[84:85]
	v_mul_f64 v[48:49], v[188:189], s[26:27]
	v_add_f64 v[178:179], v[52:53], v[88:89]
	v_fma_f64 v[50:51], v[104:105], s[18:19], -v[48:49]
	v_fma_f64 v[48:49], v[104:105], s[18:19], v[48:49]
	v_add_f64 v[184:185], v[50:51], v[90:91]
	;; [unrolled: 5-line block ×4, first 2 shown]
	v_mul_f64 v[50:51], v[158:159], s[50:51]
	v_add_f64 v[188:189], v[48:49], v[100:101]
	v_add_f64 v[96:97], v[144:145], -v[128:129]
	v_fma_f64 v[48:49], v[156:157], s[14:15], -v[50:51]
	v_fma_f64 v[52:53], v[156:157], s[14:15], v[50:51]
	v_add_f64 v[50:51], v[138:139], -v[134:135]
	v_add_f64 v[190:191], v[48:49], v[102:103]
	v_add_f64 v[48:49], v[136:137], -v[132:133]
	v_add_f64 v[194:195], v[52:53], v[98:99]
	v_mul_f64 v[52:53], v[50:51], s[34:35]
	v_mul_f64 v[60:61], v[50:51], s[40:41]
	;; [unrolled: 1-line block ×4, first 2 shown]
	buffer_store_dword v52, off, s[60:63], 0 offset:536 ; 4-byte Folded Spill
	s_nop 0
	buffer_store_dword v53, off, s[60:63], 0 offset:540 ; 4-byte Folded Spill
	v_mul_f64 v[58:59], v[48:49], s[34:35]
	v_mul_f64 v[62:63], v[48:49], s[40:41]
	;; [unrolled: 1-line block ×3, first 2 shown]
	buffer_store_dword v58, off, s[60:63], 0 offset:552 ; 4-byte Folded Spill
	s_nop 0
	buffer_store_dword v59, off, s[60:63], 0 offset:556 ; 4-byte Folded Spill
	buffer_store_dword v60, off, s[60:63], 0 offset:568 ; 4-byte Folded Spill
	s_nop 0
	buffer_store_dword v61, off, s[60:63], 0 offset:572 ; 4-byte Folded Spill
	;; [unrolled: 3-line block ×5, first 2 shown]
	v_mul_f64 v[70:71], v[48:49], s[38:39]
	buffer_store_dword v68, off, s[60:63], 0 offset:680 ; 4-byte Folded Spill
	s_nop 0
	buffer_store_dword v69, off, s[60:63], 0 offset:684 ; 4-byte Folded Spill
	buffer_store_dword v70, off, s[60:63], 0 offset:696 ; 4-byte Folded Spill
	s_nop 0
	buffer_store_dword v71, off, s[60:63], 0 offset:700 ; 4-byte Folded Spill
	v_add_f64 v[98:99], v[146:147], -v[130:131]
	v_mul_f64 v[102:103], v[96:97], s[40:41]
	v_mul_f64 v[100:101], v[98:99], s[40:41]
	v_fma_f64 v[52:53], v[54:55], s[0:1], v[52:53]
	v_add_f64 v[52:53], v[52:53], v[0:1]
	v_fma_f64 v[58:59], v[56:57], s[0:1], -v[58:59]
	v_fma_f64 v[60:61], v[54:55], s[16:17], v[60:61]
	v_fma_f64 v[62:63], v[56:57], s[16:17], -v[62:63]
	v_fma_f64 v[64:65], v[54:55], s[12:13], v[64:65]
	;; [unrolled: 2-line block ×3, first 2 shown]
	v_add_f64 v[58:59], v[58:59], v[2:3]
	v_add_f64 v[60:61], v[60:61], v[0:1]
	;; [unrolled: 1-line block ×6, first 2 shown]
	v_fma_f64 v[68:69], v[56:57], s[14:15], -v[70:71]
	v_mul_f64 v[70:71], v[48:49], s[26:27]
	v_add_f64 v[74:75], v[68:69], v[2:3]
	v_mul_f64 v[68:69], v[50:51], s[26:27]
	buffer_store_dword v68, off, s[60:63], 0 offset:712 ; 4-byte Folded Spill
	s_nop 0
	buffer_store_dword v69, off, s[60:63], 0 offset:716 ; 4-byte Folded Spill
	buffer_store_dword v70, off, s[60:63], 0 offset:744 ; 4-byte Folded Spill
	s_nop 0
	buffer_store_dword v71, off, s[60:63], 0 offset:748 ; 4-byte Folded Spill
	v_fma_f64 v[68:69], v[54:55], s[18:19], v[68:69]
	v_add_f64 v[76:77], v[68:69], v[0:1]
	v_fma_f64 v[68:69], v[56:57], s[18:19], -v[70:71]
	v_mul_f64 v[70:71], v[48:49], s[28:29]
	v_add_f64 v[78:79], v[68:69], v[2:3]
	v_mul_f64 v[68:69], v[50:51], s[28:29]
	buffer_store_dword v68, off, s[60:63], 0 offset:776 ; 4-byte Folded Spill
	s_nop 0
	buffer_store_dword v69, off, s[60:63], 0 offset:780 ; 4-byte Folded Spill
	buffer_store_dword v70, off, s[60:63], 0 offset:792 ; 4-byte Folded Spill
	s_nop 0
	buffer_store_dword v71, off, s[60:63], 0 offset:796 ; 4-byte Folded Spill
	;; [unrolled: 3-line block ×4, first 2 shown]
	v_fma_f64 v[68:69], v[54:55], s[22:23], v[68:69]
	v_add_f64 v[80:81], v[68:69], v[0:1]
	v_fma_f64 v[68:69], v[56:57], s[22:23], -v[70:71]
	v_add_f64 v[82:83], v[68:69], v[2:3]
	v_mul_f64 v[68:69], v[50:51], s[30:31]
	v_mul_f64 v[50:51], v[50:51], s[42:43]
	v_fma_f64 v[70:71], v[54:55], s[20:21], -v[68:69]
	v_fma_f64 v[68:69], v[54:55], s[20:21], v[68:69]
	v_add_f64 v[84:85], v[70:71], v[0:1]
	v_mul_f64 v[70:71], v[48:49], s[30:31]
	v_add_f64 v[88:89], v[68:69], v[0:1]
	v_mul_f64 v[48:49], v[48:49], s[42:43]
	v_fma_f64 v[68:69], v[56:57], s[20:21], -v[70:71]
	v_fma_f64 v[86:87], v[56:57], s[20:21], v[70:71]
	v_add_f64 v[70:71], v[130:131], v[146:147]
	v_add_f64 v[90:91], v[68:69], v[2:3]
	v_fma_f64 v[68:69], v[54:55], s[24:25], -v[50:51]
	v_fma_f64 v[50:51], v[54:55], s[24:25], v[50:51]
	v_add_f64 v[86:87], v[86:87], v[2:3]
	v_add_f64 v[92:93], v[68:69], v[0:1]
	v_fma_f64 v[68:69], v[56:57], s[24:25], v[48:49]
	v_add_f64 v[50:51], v[50:51], v[0:1]
	v_fma_f64 v[48:49], v[56:57], s[24:25], -v[48:49]
	v_add_f64 v[94:95], v[68:69], v[2:3]
	v_add_f64 v[68:69], v[128:129], v[144:145]
	;; [unrolled: 1-line block ×3, first 2 shown]
	v_fma_f64 v[100:101], v[68:69], s[16:17], v[100:101]
	v_add_f64 v[52:53], v[52:53], v[100:101]
	v_fma_f64 v[100:101], v[70:71], s[16:17], -v[102:103]
	v_mul_f64 v[102:103], v[96:97], s[38:39]
	v_add_f64 v[58:59], v[100:101], v[58:59]
	v_mul_f64 v[100:101], v[98:99], s[38:39]
	buffer_store_dword v100, off, s[60:63], 0 offset:648 ; 4-byte Folded Spill
	s_nop 0
	buffer_store_dword v101, off, s[60:63], 0 offset:652 ; 4-byte Folded Spill
	buffer_store_dword v102, off, s[60:63], 0 offset:728 ; 4-byte Folded Spill
	s_nop 0
	buffer_store_dword v103, off, s[60:63], 0 offset:732 ; 4-byte Folded Spill
	v_fma_f64 v[100:101], v[68:69], s[14:15], v[100:101]
	v_add_f64 v[60:61], v[60:61], v[100:101]
	v_fma_f64 v[100:101], v[70:71], s[14:15], -v[102:103]
	v_mul_f64 v[102:103], v[96:97], s[28:29]
	v_add_f64 v[62:63], v[100:101], v[62:63]
	v_mul_f64 v[100:101], v[98:99], s[28:29]
	buffer_store_dword v100, off, s[60:63], 0 offset:760 ; 4-byte Folded Spill
	s_nop 0
	buffer_store_dword v101, off, s[60:63], 0 offset:764 ; 4-byte Folded Spill
	buffer_store_dword v102, off, s[60:63], 0 offset:824 ; 4-byte Folded Spill
	s_nop 0
	buffer_store_dword v103, off, s[60:63], 0 offset:828 ; 4-byte Folded Spill
	;; [unrolled: 12-line block ×5, first 2 shown]
	v_fma_f64 v[100:101], v[68:69], s[18:19], v[100:101]
	v_add_f64 v[80:81], v[80:81], v[100:101]
	v_fma_f64 v[100:101], v[70:71], s[18:19], -v[102:103]
	v_add_f64 v[82:83], v[100:101], v[82:83]
	v_mul_f64 v[100:101], v[98:99], s[36:37]
	v_mul_f64 v[98:99], v[98:99], s[46:47]
	v_fma_f64 v[102:103], v[68:69], s[12:13], -v[100:101]
	v_fma_f64 v[100:101], v[68:69], s[12:13], v[100:101]
	v_add_f64 v[84:85], v[84:85], v[102:103]
	v_mul_f64 v[102:103], v[96:97], s[36:37]
	v_add_f64 v[88:89], v[88:89], v[100:101]
	v_mul_f64 v[96:97], v[96:97], s[46:47]
	v_fma_f64 v[100:101], v[70:71], s[12:13], -v[102:103]
	v_fma_f64 v[104:105], v[70:71], s[12:13], v[102:103]
	v_add_f64 v[90:91], v[100:101], v[90:91]
	v_fma_f64 v[100:101], v[68:69], s[0:1], -v[98:99]
	v_fma_f64 v[98:99], v[68:69], s[0:1], v[98:99]
	v_add_f64 v[86:87], v[104:105], v[86:87]
	v_add_f64 v[92:93], v[92:93], v[100:101]
	v_fma_f64 v[100:101], v[70:71], s[0:1], v[96:97]
	v_add_f64 v[50:51], v[50:51], v[98:99]
	v_fma_f64 v[96:97], v[70:71], s[0:1], -v[96:97]
	v_add_f64 v[98:99], v[150:151], -v[126:127]
	v_add_f64 v[94:95], v[100:101], v[94:95]
	v_add_f64 v[48:49], v[96:97], v[48:49]
	v_add_f64 v[96:97], v[148:149], -v[124:125]
	v_mul_f64 v[100:101], v[98:99], s[44:45]
	buffer_store_dword v100, off, s[60:63], 0 offset:800 ; 4-byte Folded Spill
	s_nop 0
	buffer_store_dword v101, off, s[60:63], 0 offset:804 ; 4-byte Folded Spill
	v_mul_f64 v[102:103], v[96:97], s[44:45]
	buffer_store_dword v102, off, s[60:63], 0 offset:808 ; 4-byte Folded Spill
	s_nop 0
	buffer_store_dword v103, off, s[60:63], 0 offset:812 ; 4-byte Folded Spill
	v_fma_f64 v[100:101], v[198:199], s[12:13], v[100:101]
	v_add_f64 v[52:53], v[100:101], v[52:53]
	v_fma_f64 v[100:101], v[202:203], s[12:13], -v[102:103]
	v_mul_f64 v[102:103], v[96:97], s[28:29]
	v_add_f64 v[58:59], v[100:101], v[58:59]
	v_mul_f64 v[100:101], v[98:99], s[28:29]
	buffer_store_dword v100, off, s[60:63], 0 offset:816 ; 4-byte Folded Spill
	s_nop 0
	buffer_store_dword v101, off, s[60:63], 0 offset:820 ; 4-byte Folded Spill
	buffer_store_dword v102, off, s[60:63], 0 offset:880 ; 4-byte Folded Spill
	s_nop 0
	buffer_store_dword v103, off, s[60:63], 0 offset:884 ; 4-byte Folded Spill
	v_fma_f64 v[100:101], v[198:199], s[22:23], v[100:101]
	v_add_f64 v[60:61], v[100:101], v[60:61]
	v_fma_f64 v[100:101], v[202:203], s[22:23], -v[102:103]
	v_mul_f64 v[102:103], v[96:97], s[58:59]
	v_add_f64 v[62:63], v[100:101], v[62:63]
	v_mul_f64 v[100:101], v[98:99], s[58:59]
	buffer_store_dword v100, off, s[60:63], 0 offset:904 ; 4-byte Folded Spill
	s_nop 0
	buffer_store_dword v101, off, s[60:63], 0 offset:908 ; 4-byte Folded Spill
	;; [unrolled: 12-line block ×5, first 2 shown]
	buffer_store_dword v102, off, s[60:63], 0 offset:1048 ; 4-byte Folded Spill
	s_nop 0
	buffer_store_dword v103, off, s[60:63], 0 offset:1052 ; 4-byte Folded Spill
	v_fma_f64 v[100:101], v[198:199], s[0:1], v[100:101]
	v_add_f64 v[80:81], v[100:101], v[80:81]
	v_fma_f64 v[100:101], v[202:203], s[0:1], -v[102:103]
	v_add_f64 v[82:83], v[100:101], v[82:83]
	v_mul_f64 v[100:101], v[98:99], s[38:39]
	v_mul_f64 v[98:99], v[98:99], s[30:31]
	v_fma_f64 v[102:103], v[198:199], s[14:15], -v[100:101]
	v_fma_f64 v[100:101], v[198:199], s[14:15], v[100:101]
	v_add_f64 v[84:85], v[102:103], v[84:85]
	v_mul_f64 v[102:103], v[96:97], s[38:39]
	v_add_f64 v[88:89], v[100:101], v[88:89]
	v_mul_f64 v[96:97], v[96:97], s[30:31]
	v_fma_f64 v[100:101], v[202:203], s[14:15], -v[102:103]
	v_fma_f64 v[104:105], v[202:203], s[14:15], v[102:103]
	v_add_f64 v[90:91], v[100:101], v[90:91]
	v_fma_f64 v[100:101], v[198:199], s[20:21], -v[98:99]
	v_fma_f64 v[98:99], v[198:199], s[20:21], v[98:99]
	v_add_f64 v[86:87], v[104:105], v[86:87]
	v_add_f64 v[92:93], v[100:101], v[92:93]
	v_fma_f64 v[100:101], v[202:203], s[20:21], v[96:97]
	v_add_f64 v[50:51], v[98:99], v[50:51]
	v_fma_f64 v[96:97], v[202:203], s[20:21], -v[96:97]
	v_add_f64 v[98:99], v[142:143], -v[122:123]
	v_add_f64 v[94:95], v[100:101], v[94:95]
	v_add_f64 v[48:49], v[96:97], v[48:49]
	v_add_f64 v[96:97], v[140:141], -v[120:121]
	v_mul_f64 v[100:101], v[98:99], s[38:39]
	buffer_store_dword v100, off, s[60:63], 0 offset:952 ; 4-byte Folded Spill
	s_nop 0
	buffer_store_dword v101, off, s[60:63], 0 offset:956 ; 4-byte Folded Spill
	v_mul_f64 v[102:103], v[96:97], s[38:39]
	buffer_store_dword v102, off, s[60:63], 0 offset:968 ; 4-byte Folded Spill
	s_nop 0
	buffer_store_dword v103, off, s[60:63], 0 offset:972 ; 4-byte Folded Spill
	v_fma_f64 v[100:101], v[226:227], s[14:15], v[100:101]
	v_add_f64 v[52:53], v[100:101], v[52:53]
	v_fma_f64 v[100:101], v[228:229], s[14:15], -v[102:103]
	v_mul_f64 v[102:103], v[96:97], s[42:43]
	v_add_f64 v[58:59], v[100:101], v[58:59]
	v_mul_f64 v[100:101], v[98:99], s[42:43]
	buffer_store_dword v100, off, s[60:63], 0 offset:976 ; 4-byte Folded Spill
	s_nop 0
	buffer_store_dword v101, off, s[60:63], 0 offset:980 ; 4-byte Folded Spill
	buffer_store_dword v102, off, s[60:63], 0 offset:1008 ; 4-byte Folded Spill
	s_nop 0
	buffer_store_dword v103, off, s[60:63], 0 offset:1012 ; 4-byte Folded Spill
	v_fma_f64 v[100:101], v[226:227], s[24:25], v[100:101]
	v_add_f64 v[60:61], v[100:101], v[60:61]
	v_fma_f64 v[100:101], v[228:229], s[24:25], -v[102:103]
	v_mul_f64 v[102:103], v[96:97], s[52:53]
	v_add_f64 v[62:63], v[100:101], v[62:63]
	v_mul_f64 v[100:101], v[98:99], s[52:53]
	buffer_store_dword v100, off, s[60:63], 0 offset:1040 ; 4-byte Folded Spill
	s_nop 0
	buffer_store_dword v101, off, s[60:63], 0 offset:1044 ; 4-byte Folded Spill
	;; [unrolled: 12-line block ×5, first 2 shown]
	buffer_store_dword v102, off, s[60:63], 0 offset:1160 ; 4-byte Folded Spill
	s_nop 0
	buffer_store_dword v103, off, s[60:63], 0 offset:1164 ; 4-byte Folded Spill
	v_fma_f64 v[100:101], v[226:227], s[20:21], v[100:101]
	v_add_f64 v[80:81], v[100:101], v[80:81]
	v_fma_f64 v[100:101], v[228:229], s[20:21], -v[102:103]
	v_add_f64 v[82:83], v[100:101], v[82:83]
	v_mul_f64 v[100:101], v[98:99], s[56:57]
	v_mul_f64 v[98:99], v[98:99], s[48:49]
	v_fma_f64 v[102:103], v[226:227], s[22:23], -v[100:101]
	v_fma_f64 v[100:101], v[226:227], s[22:23], v[100:101]
	v_add_f64 v[84:85], v[102:103], v[84:85]
	v_mul_f64 v[102:103], v[96:97], s[56:57]
	v_add_f64 v[88:89], v[100:101], v[88:89]
	v_mul_f64 v[96:97], v[96:97], s[48:49]
	v_fma_f64 v[100:101], v[228:229], s[22:23], -v[102:103]
	v_fma_f64 v[104:105], v[228:229], s[22:23], v[102:103]
	v_add_f64 v[90:91], v[100:101], v[90:91]
	v_fma_f64 v[100:101], v[226:227], s[16:17], -v[98:99]
	v_fma_f64 v[98:99], v[226:227], s[16:17], v[98:99]
	v_add_f64 v[86:87], v[104:105], v[86:87]
	v_add_f64 v[92:93], v[100:101], v[92:93]
	v_fma_f64 v[100:101], v[228:229], s[16:17], v[96:97]
	v_add_f64 v[50:51], v[98:99], v[50:51]
	v_fma_f64 v[96:97], v[228:229], s[16:17], -v[96:97]
	v_add_f64 v[98:99], v[154:155], -v[118:119]
	v_add_f64 v[94:95], v[100:101], v[94:95]
	v_add_f64 v[48:49], v[96:97], v[48:49]
	v_add_f64 v[96:97], v[152:153], -v[116:117]
	v_mul_f64 v[100:101], v[98:99], s[26:27]
	buffer_store_dword v100, off, s[60:63], 0 offset:1056 ; 4-byte Folded Spill
	s_nop 0
	buffer_store_dword v101, off, s[60:63], 0 offset:1060 ; 4-byte Folded Spill
	v_mul_f64 v[102:103], v[96:97], s[26:27]
	buffer_store_dword v102, off, s[60:63], 0 offset:1064 ; 4-byte Folded Spill
	s_nop 0
	buffer_store_dword v103, off, s[60:63], 0 offset:1068 ; 4-byte Folded Spill
	v_mul_f64 v[104:105], v[96:97], s[44:45]
	v_fma_f64 v[100:101], v[248:249], s[18:19], v[100:101]
	v_add_f64 v[52:53], v[100:101], v[52:53]
	v_fma_f64 v[100:101], v[250:251], s[18:19], -v[102:103]
	v_mul_f64 v[102:103], v[96:97], s[54:55]
	v_add_f64 v[58:59], v[100:101], v[58:59]
	v_mul_f64 v[100:101], v[98:99], s[54:55]
	buffer_store_dword v100, off, s[60:63], 0 offset:1072 ; 4-byte Folded Spill
	s_nop 0
	buffer_store_dword v101, off, s[60:63], 0 offset:1076 ; 4-byte Folded Spill
	buffer_store_dword v102, off, s[60:63], 0 offset:1104 ; 4-byte Folded Spill
	s_nop 0
	buffer_store_dword v103, off, s[60:63], 0 offset:1108 ; 4-byte Folded Spill
	v_fma_f64 v[100:101], v[248:249], s[20:21], v[100:101]
	v_add_f64 v[60:61], v[100:101], v[60:61]
	v_fma_f64 v[100:101], v[250:251], s[20:21], -v[102:103]
	v_mul_f64 v[102:103], v[96:97], s[48:49]
	v_add_f64 v[62:63], v[100:101], v[62:63]
	v_mul_f64 v[100:101], v[98:99], s[48:49]
	buffer_store_dword v100, off, s[60:63], 0 offset:1144 ; 4-byte Folded Spill
	s_nop 0
	buffer_store_dword v101, off, s[60:63], 0 offset:1148 ; 4-byte Folded Spill
	buffer_store_dword v102, off, s[60:63], 0 offset:1176 ; 4-byte Folded Spill
	s_nop 0
	buffer_store_dword v103, off, s[60:63], 0 offset:1180 ; 4-byte Folded Spill
	v_fma_f64 v[100:101], v[248:249], s[16:17], v[100:101]
	v_add_f64 v[64:65], v[100:101], v[64:65]
	v_fma_f64 v[100:101], v[250:251], s[16:17], -v[102:103]
	v_add_f64 v[100:101], v[100:101], v[66:67]
	v_mul_f64 v[66:67], v[98:99], s[44:45]
	buffer_store_dword v66, off, s[60:63], 0 offset:1192 ; 4-byte Folded Spill
	s_nop 0
	buffer_store_dword v67, off, s[60:63], 0 offset:1196 ; 4-byte Folded Spill
	buffer_store_dword v104, off, s[60:63], 0 offset:1200 ; 4-byte Folded Spill
	s_nop 0
	buffer_store_dword v105, off, s[60:63], 0 offset:1204 ; 4-byte Folded Spill
	v_fma_f64 v[66:67], v[248:249], s[12:13], v[66:67]
	v_add_f64 v[102:103], v[66:67], v[72:73]
	v_fma_f64 v[66:67], v[250:251], s[12:13], -v[104:105]
	v_mul_f64 v[72:73], v[96:97], s[42:43]
	v_add_f64 v[74:75], v[66:67], v[74:75]
	v_mul_f64 v[66:67], v[98:99], s[42:43]
	buffer_store_dword v66, off, s[60:63], 0 offset:1216 ; 4-byte Folded Spill
	s_nop 0
	buffer_store_dword v67, off, s[60:63], 0 offset:1220 ; 4-byte Folded Spill
	buffer_store_dword v72, off, s[60:63], 0 offset:1224 ; 4-byte Folded Spill
	s_nop 0
	buffer_store_dword v73, off, s[60:63], 0 offset:1228 ; 4-byte Folded Spill
	v_fma_f64 v[66:67], v[248:249], s[24:25], v[66:67]
	v_add_f64 v[76:77], v[66:67], v[76:77]
	v_fma_f64 v[66:67], v[250:251], s[24:25], -v[72:73]
	v_mul_f64 v[72:73], v[96:97], s[50:51]
	v_add_f64 v[78:79], v[66:67], v[78:79]
	v_mul_f64 v[66:67], v[98:99], s[50:51]
	buffer_store_dword v66, off, s[60:63], 0 offset:1232 ; 4-byte Folded Spill
	s_nop 0
	buffer_store_dword v67, off, s[60:63], 0 offset:1236 ; 4-byte Folded Spill
	buffer_store_dword v72, off, s[60:63], 0 offset:1264 ; 4-byte Folded Spill
	s_nop 0
	buffer_store_dword v73, off, s[60:63], 0 offset:1268 ; 4-byte Folded Spill
	v_fma_f64 v[66:67], v[248:249], s[14:15], v[66:67]
	v_add_f64 v[80:81], v[66:67], v[80:81]
	v_fma_f64 v[66:67], v[250:251], s[14:15], -v[72:73]
	v_add_f64 v[82:83], v[66:67], v[82:83]
	v_mul_f64 v[66:67], v[98:99], s[34:35]
	v_fma_f64 v[72:73], v[248:249], s[0:1], -v[66:67]
	v_fma_f64 v[66:67], v[248:249], s[0:1], v[66:67]
	v_add_f64 v[84:85], v[72:73], v[84:85]
	v_mul_f64 v[72:73], v[96:97], s[34:35]
	v_add_f64 v[88:89], v[66:67], v[88:89]
	v_fma_f64 v[66:67], v[250:251], s[0:1], -v[72:73]
	v_fma_f64 v[104:105], v[250:251], s[0:1], v[72:73]
	v_add_f64 v[90:91], v[66:67], v[90:91]
	v_mul_f64 v[66:67], v[98:99], s[28:29]
	v_add_f64 v[98:99], v[14:15], -v[114:115]
	v_add_f64 v[86:87], v[104:105], v[86:87]
	v_fma_f64 v[72:73], v[248:249], s[22:23], -v[66:67]
	v_mul_f64 v[104:105], v[98:99], s[28:29]
	buffer_store_dword v104, off, s[60:63], 0 offset:1136 ; 4-byte Folded Spill
	s_nop 0
	buffer_store_dword v105, off, s[60:63], 0 offset:1140 ; 4-byte Folded Spill
	v_add_f64 v[92:93], v[72:73], v[92:93]
	v_mul_f64 v[72:73], v[96:97], s[28:29]
	v_fma_f64 v[66:67], v[248:249], s[22:23], v[66:67]
	v_mul_f64 v[230:231], v[98:99], s[30:31]
	v_mul_f64 v[234:235], v[98:99], s[50:51]
	;; [unrolled: 1-line block ×3, first 2 shown]
	v_fma_f64 v[96:97], v[250:251], s[22:23], v[72:73]
	v_add_f64 v[50:51], v[66:67], v[50:51]
	v_fma_f64 v[66:67], v[250:251], s[22:23], -v[72:73]
	v_add_f64 v[72:73], v[14:15], v[114:115]
	v_add_f64 v[94:95], v[96:97], v[94:95]
	v_add_f64 v[96:97], v[12:13], -v[112:113]
	v_add_f64 v[48:49], v[66:67], v[48:49]
	v_add_f64 v[66:67], v[12:13], v[112:113]
	v_mul_f64 v[156:157], v[96:97], s[28:29]
	buffer_store_dword v156, off, s[60:63], 0 offset:1152 ; 4-byte Folded Spill
	s_nop 0
	buffer_store_dword v157, off, s[60:63], 0 offset:1156 ; 4-byte Folded Spill
	v_mul_f64 v[232:233], v[96:97], s[30:31]
	v_mul_f64 v[240:241], v[96:97], s[50:51]
	v_mul_f64 v[254:255], v[96:97], s[40:41]
	v_fma_f64 v[104:105], v[66:67], s[22:23], v[104:105]
	v_add_f64 v[52:53], v[104:105], v[52:53]
	v_fma_f64 v[104:105], v[72:73], s[22:23], -v[156:157]
	v_mul_f64 v[156:157], v[96:97], s[52:53]
	v_add_f64 v[58:59], v[104:105], v[58:59]
	v_mul_f64 v[104:105], v[98:99], s[52:53]
	buffer_store_dword v104, off, s[60:63], 0 offset:1168 ; 4-byte Folded Spill
	s_nop 0
	buffer_store_dword v105, off, s[60:63], 0 offset:1172 ; 4-byte Folded Spill
	buffer_store_dword v156, off, s[60:63], 0 offset:1208 ; 4-byte Folded Spill
	s_nop 0
	buffer_store_dword v157, off, s[60:63], 0 offset:1212 ; 4-byte Folded Spill
	v_fma_f64 v[104:105], v[66:67], s[18:19], v[104:105]
	v_add_f64 v[60:61], v[104:105], v[60:61]
	v_fma_f64 v[104:105], v[72:73], s[18:19], -v[156:157]
	v_mul_f64 v[156:157], v[96:97], s[34:35]
	v_add_f64 v[62:63], v[104:105], v[62:63]
	v_mul_f64 v[104:105], v[98:99], s[34:35]
	buffer_store_dword v104, off, s[60:63], 0 offset:1184 ; 4-byte Folded Spill
	s_nop 0
	buffer_store_dword v105, off, s[60:63], 0 offset:1188 ; 4-byte Folded Spill
	buffer_store_dword v156, off, s[60:63], 0 offset:1272 ; 4-byte Folded Spill
	s_nop 0
	buffer_store_dword v157, off, s[60:63], 0 offset:1276 ; 4-byte Folded Spill
	v_fma_f64 v[104:105], v[66:67], s[0:1], v[104:105]
	v_add_f64 v[64:65], v[104:105], v[64:65]
	v_fma_f64 v[104:105], v[72:73], s[0:1], -v[156:157]
	v_add_f64 v[100:101], v[104:105], v[100:101]
	v_fma_f64 v[104:105], v[66:67], s[20:21], v[230:231]
	v_add_f64 v[102:103], v[104:105], v[102:103]
	v_fma_f64 v[104:105], v[72:73], s[20:21], -v[232:233]
	v_add_f64 v[74:75], v[104:105], v[74:75]
	;; [unrolled: 4-line block ×4, first 2 shown]
	v_mul_f64 v[82:83], v[98:99], s[42:43]
	v_fma_f64 v[156:157], v[66:67], s[24:25], -v[82:83]
	v_fma_f64 v[82:83], v[66:67], s[24:25], v[82:83]
	v_add_f64 v[84:85], v[156:157], v[84:85]
	v_mul_f64 v[156:157], v[96:97], s[42:43]
	v_add_f64 v[88:89], v[82:83], v[88:89]
	v_fma_f64 v[82:83], v[72:73], s[24:25], -v[156:157]
	v_fma_f64 v[158:159], v[72:73], s[24:25], v[156:157]
	v_mul_f64 v[156:157], v[244:245], s[56:57]
	v_add_f64 v[236:237], v[82:83], v[90:91]
	v_mul_f64 v[82:83], v[98:99], s[36:37]
	v_add_f64 v[158:159], v[158:159], v[86:87]
	v_fma_f64 v[86:87], v[66:67], s[12:13], -v[82:83]
	v_fma_f64 v[82:83], v[66:67], s[12:13], v[82:83]
	v_add_f64 v[92:93], v[86:87], v[92:93]
	v_mul_f64 v[86:87], v[96:97], s[36:37]
	v_add_f64 v[96:97], v[82:83], v[50:51]
	v_fma_f64 v[50:51], v[72:73], s[12:13], -v[86:87]
	v_fma_f64 v[90:91], v[72:73], s[12:13], v[86:87]
	v_add_f64 v[98:99], v[50:51], v[48:49]
	v_mul_f64 v[48:49], v[244:245], s[30:31]
	v_mul_f64 v[50:51], v[238:239], s[30:31]
	buffer_store_dword v48, off, s[60:63], 0 offset:1240 ; 4-byte Folded Spill
	s_nop 0
	buffer_store_dword v49, off, s[60:63], 0 offset:1244 ; 4-byte Folded Spill
	buffer_store_dword v50, off, s[60:63], 0 offset:1248 ; 4-byte Folded Spill
	s_nop 0
	buffer_store_dword v51, off, s[60:63], 0 offset:1252 ; 4-byte Folded Spill
	v_add_f64 v[94:95], v[90:91], v[94:95]
	v_fma_f64 v[48:49], v[206:207], s[20:21], v[48:49]
	v_add_f64 v[210:211], v[48:49], v[52:53]
	v_fma_f64 v[48:49], v[208:209], s[20:21], -v[50:51]
	v_mul_f64 v[50:51], v[238:239], s[36:37]
	v_mul_f64 v[52:53], v[238:239], s[34:35]
	v_add_f64 v[58:59], v[48:49], v[58:59]
	v_mul_f64 v[48:49], v[244:245], s[36:37]
	buffer_store_dword v48, off, s[60:63], 0 offset:1256 ; 4-byte Folded Spill
	s_nop 0
	buffer_store_dword v49, off, s[60:63], 0 offset:1260 ; 4-byte Folded Spill
	buffer_store_dword v50, off, s[60:63], 0 offset:1280 ; 4-byte Folded Spill
	s_nop 0
	buffer_store_dword v51, off, s[60:63], 0 offset:1284 ; 4-byte Folded Spill
	v_fma_f64 v[48:49], v[206:207], s[12:13], v[48:49]
	v_add_f64 v[212:213], v[48:49], v[60:61]
	v_fma_f64 v[48:49], v[208:209], s[12:13], -v[50:51]
	v_fma_f64 v[50:51], v[206:207], s[22:23], v[156:157]
	v_add_f64 v[214:215], v[48:49], v[62:63]
	v_fma_f64 v[48:49], v[206:207], s[14:15], v[224:225]
	v_add_f64 v[220:221], v[50:51], v[102:103]
	v_mul_f64 v[62:63], v[238:239], s[42:43]
	v_add_f64 v[216:217], v[48:49], v[64:65]
	v_fma_f64 v[48:49], v[208:209], s[14:15], -v[252:253]
	v_add_f64 v[218:219], v[48:49], v[100:101]
	v_mul_f64 v[48:49], v[238:239], s[56:57]
	v_fma_f64 v[50:51], v[208:209], s[22:23], -v[48:49]
	v_add_f64 v[222:223], v[50:51], v[74:75]
	v_mul_f64 v[50:51], v[244:245], s[34:35]
	v_fma_f64 v[60:61], v[206:207], s[0:1], v[50:51]
	v_add_f64 v[86:87], v[60:61], v[76:77]
	v_fma_f64 v[60:61], v[208:209], s[0:1], -v[52:53]
	v_add_f64 v[82:83], v[60:61], v[78:79]
	v_mul_f64 v[60:61], v[244:245], s[42:43]
	v_fma_f64 v[64:65], v[206:207], s[24:25], v[60:61]
	v_add_f64 v[204:205], v[64:65], v[80:81]
	v_fma_f64 v[64:65], v[208:209], s[24:25], -v[62:63]
	v_add_f64 v[200:201], v[64:65], v[104:105]
	v_mul_f64 v[64:65], v[244:245], s[48:49]
	v_fma_f64 v[74:75], v[206:207], s[16:17], -v[64:65]
	v_fma_f64 v[64:65], v[206:207], s[16:17], v[64:65]
	v_add_f64 v[90:91], v[74:75], v[84:85]
	v_mul_f64 v[74:75], v[238:239], s[48:49]
	v_add_f64 v[84:85], v[64:65], v[88:89]
	v_add_f64 v[88:89], v[10:11], -v[18:19]
	v_fma_f64 v[64:65], v[208:209], s[16:17], -v[74:75]
	v_fma_f64 v[76:77], v[208:209], s[16:17], v[74:75]
	v_add_f64 v[80:81], v[64:65], v[236:237]
	v_mul_f64 v[64:65], v[244:245], s[26:27]
	v_add_f64 v[196:197], v[76:77], v[158:159]
	v_add_f64 v[236:237], v[8:9], v[16:17]
	v_mul_f64 v[244:245], v[88:89], s[42:43]
	v_mul_f64 v[158:159], v[88:89], s[46:47]
	v_fma_f64 v[74:75], v[206:207], s[18:19], -v[64:65]
	v_fma_f64 v[64:65], v[206:207], s[18:19], v[64:65]
	v_add_f64 v[76:77], v[74:75], v[92:93]
	v_mul_f64 v[74:75], v[238:239], s[26:27]
	v_add_f64 v[101:102], v[64:65], v[96:97]
	v_add_f64 v[238:239], v[10:11], v[18:19]
	v_fma_f64 v[78:79], v[208:209], s[18:19], v[74:75]
	v_fma_f64 v[64:65], v[208:209], s[18:19], -v[74:75]
	v_add_f64 v[105:106], v[78:79], v[94:95]
	v_add_f64 v[78:79], v[8:9], -v[16:17]
	v_add_f64 v[99:100], v[64:65], v[98:99]
	v_fma_f64 v[64:65], v[236:237], s[24:25], v[244:245]
	v_mul_f64 v[246:247], v[78:79], s[42:43]
	v_mul_f64 v[74:75], v[78:79], s[30:31]
	v_add_f64 v[92:93], v[64:65], v[210:211]
	v_mul_f64 v[103:104], v[78:79], s[28:29]
	v_fma_f64 v[64:65], v[238:239], s[24:25], -v[246:247]
	v_add_f64 v[94:95], v[64:65], v[58:59]
	v_mul_f64 v[58:59], v[78:79], s[46:47]
	v_fma_f64 v[64:65], v[236:237], s[0:1], v[158:159]
	buffer_store_dword v92, off, s[60:63], 0 offset:4 ; 4-byte Folded Spill
	s_nop 0
	buffer_store_dword v93, off, s[60:63], 0 offset:8 ; 4-byte Folded Spill
	buffer_store_dword v94, off, s[60:63], 0 offset:12 ; 4-byte Folded Spill
	buffer_store_dword v95, off, s[60:63], 0 offset:16 ; 4-byte Folded Spill
	v_add_f64 v[92:93], v[64:65], v[212:213]
	v_fma_f64 v[64:65], v[238:239], s[0:1], -v[58:59]
	v_add_f64 v[94:95], v[64:65], v[214:215]
	v_mul_f64 v[64:65], v[88:89], s[30:31]
	buffer_store_dword v92, off, s[60:63], 0 offset:20 ; 4-byte Folded Spill
	s_nop 0
	buffer_store_dword v93, off, s[60:63], 0 offset:24 ; 4-byte Folded Spill
	buffer_store_dword v94, off, s[60:63], 0 offset:28 ; 4-byte Folded Spill
	;; [unrolled: 1-line block ×3, first 2 shown]
	v_fma_f64 v[92:93], v[236:237], s[20:21], v[64:65]
	v_add_f64 v[94:95], v[92:93], v[216:217]
	v_fma_f64 v[92:93], v[238:239], s[20:21], -v[74:75]
	v_add_f64 v[96:97], v[92:93], v[218:219]
	v_mul_f64 v[92:93], v[88:89], s[48:49]
	buffer_store_dword v94, off, s[60:63], 0 offset:36 ; 4-byte Folded Spill
	s_nop 0
	buffer_store_dword v95, off, s[60:63], 0 offset:40 ; 4-byte Folded Spill
	buffer_store_dword v96, off, s[60:63], 0 offset:44 ; 4-byte Folded Spill
	;; [unrolled: 1-line block ×3, first 2 shown]
	v_mul_f64 v[95:96], v[78:79], s[48:49]
	v_fma_f64 v[97:98], v[236:237], s[16:17], v[92:93]
	v_add_f64 v[210:211], v[97:98], v[220:221]
	v_fma_f64 v[97:98], v[238:239], s[16:17], -v[95:96]
	v_add_f64 v[212:213], v[97:98], v[222:223]
	v_mul_f64 v[97:98], v[88:89], s[28:29]
	buffer_store_dword v210, off, s[60:63], 0 offset:52 ; 4-byte Folded Spill
	s_nop 0
	buffer_store_dword v211, off, s[60:63], 0 offset:56 ; 4-byte Folded Spill
	buffer_store_dword v212, off, s[60:63], 0 offset:60 ; 4-byte Folded Spill
	;; [unrolled: 1-line block ×3, first 2 shown]
	v_fma_f64 v[210:211], v[236:237], s[22:23], v[97:98]
	v_add_f64 v[210:211], v[210:211], v[86:87]
	v_fma_f64 v[86:87], v[238:239], s[22:23], -v[103:104]
	v_add_f64 v[212:213], v[86:87], v[82:83]
	v_mul_f64 v[82:83], v[88:89], s[36:37]
	buffer_store_dword v210, off, s[60:63], 0 offset:68 ; 4-byte Folded Spill
	s_nop 0
	buffer_store_dword v211, off, s[60:63], 0 offset:72 ; 4-byte Folded Spill
	buffer_store_dword v212, off, s[60:63], 0 offset:76 ; 4-byte Folded Spill
	;; [unrolled: 1-line block ×3, first 2 shown]
	v_mul_f64 v[86:87], v[78:79], s[36:37]
	v_fma_f64 v[210:211], v[236:237], s[12:13], v[82:83]
	v_add_f64 v[210:211], v[210:211], v[204:205]
	v_fma_f64 v[204:205], v[238:239], s[12:13], -v[86:87]
	v_add_f64 v[212:213], v[204:205], v[200:201]
	v_mul_f64 v[200:201], v[88:89], s[26:27]
	buffer_store_dword v210, off, s[60:63], 0 offset:84 ; 4-byte Folded Spill
	s_nop 0
	buffer_store_dword v211, off, s[60:63], 0 offset:88 ; 4-byte Folded Spill
	buffer_store_dword v212, off, s[60:63], 0 offset:92 ; 4-byte Folded Spill
	;; [unrolled: 1-line block ×3, first 2 shown]
	v_fma_f64 v[204:205], v[236:237], s[18:19], -v[200:201]
	v_add_f64 v[210:211], v[204:205], v[90:91]
	v_mul_f64 v[90:91], v[78:79], s[26:27]
	v_fma_f64 v[204:205], v[238:239], s[18:19], v[90:91]
	v_add_f64 v[212:213], v[204:205], v[196:197]
	v_fma_f64 v[196:197], v[236:237], s[18:19], v[200:201]
	buffer_store_dword v210, off, s[60:63], 0 offset:100 ; 4-byte Folded Spill
	s_nop 0
	buffer_store_dword v211, off, s[60:63], 0 offset:104 ; 4-byte Folded Spill
	buffer_store_dword v212, off, s[60:63], 0 offset:108 ; 4-byte Folded Spill
	;; [unrolled: 1-line block ×3, first 2 shown]
	v_add_f64 v[210:211], v[196:197], v[84:85]
	v_fma_f64 v[84:85], v[238:239], s[18:19], -v[90:91]
	v_add_f64 v[212:213], v[84:85], v[80:81]
	v_mul_f64 v[80:81], v[88:89], s[50:51]
	buffer_store_dword v210, off, s[60:63], 0 offset:116 ; 4-byte Folded Spill
	s_nop 0
	buffer_store_dword v211, off, s[60:63], 0 offset:120 ; 4-byte Folded Spill
	buffer_store_dword v212, off, s[60:63], 0 offset:124 ; 4-byte Folded Spill
	;; [unrolled: 1-line block ×3, first 2 shown]
	v_fma_f64 v[84:85], v[236:237], s[14:15], -v[80:81]
	s_waitcnt lgkmcnt(0)
	; wave barrier
	s_waitcnt vmcnt(63) expcnt(7) lgkmcnt(15)
	buffer_load_dword v197, off, s[60:63], 0 offset:488 ; 4-byte Folded Reload
	v_add_f64 v[214:215], v[84:85], v[76:77]
	v_mul_f64 v[76:77], v[78:79], s[50:51]
	v_fma_f64 v[78:79], v[238:239], s[14:15], v[76:77]
	v_fma_f64 v[76:77], v[238:239], s[14:15], -v[76:77]
	v_add_f64 v[216:217], v[78:79], v[105:106]
	v_add_f64 v[220:221], v[76:77], v[99:100]
	buffer_load_dword v76, off, s[60:63], 0 ; 4-byte Folded Reload
	v_fma_f64 v[78:79], v[236:237], s[14:15], v[80:81]
	v_add_f64 v[218:219], v[78:79], v[101:102]
	s_waitcnt vmcnt(1)
	v_lshlrev_b32_e32 v196, 4, v197
	s_waitcnt vmcnt(0)
	v_mul_lo_u16_e32 v76, 17, v76
	v_lshl_add_u32 v94, v76, 4, v196
	buffer_load_dword v76, off, s[60:63], 0 offset:520 ; 4-byte Folded Reload
	buffer_load_dword v77, off, s[60:63], 0 offset:524 ; 4-byte Folded Reload
	;; [unrolled: 1-line block ×4, first 2 shown]
	s_waitcnt vmcnt(0)
	ds_write_b128 v94, v[76:79]
	ds_write_b128 v94, v[24:27] offset:16
	ds_write_b128 v94, v[32:35] offset:32
	;; [unrolled: 1-line block ×16, first 2 shown]
	buffer_load_dword v20, off, s[60:63], 0 offset:504 ; 4-byte Folded Reload
	s_waitcnt vmcnt(0)
	v_mul_u32_u24_e32 v160, 17, v20
	s_and_saveexec_b64 s[26:27], vcc
	s_cbranch_execz .LBB0_7
; %bb.6:
	buffer_load_dword v32, off, s[60:63], 0 offset:1264 ; 4-byte Folded Reload
	buffer_load_dword v33, off, s[60:63], 0 offset:1268 ; 4-byte Folded Reload
	;; [unrolled: 1-line block ×12, first 2 shown]
	v_mul_f64 v[30:31], v[250:251], s[14:15]
	buffer_load_dword v44, off, s[60:63], 0 offset:776 ; 4-byte Folded Reload
	buffer_load_dword v45, off, s[60:63], 0 offset:780 ; 4-byte Folded Reload
	;; [unrolled: 1-line block ×4, first 2 shown]
	v_mul_f64 v[28:29], v[72:73], s[16:17]
	v_mul_f64 v[24:25], v[208:209], s[24:25]
	v_add_f64 v[20:21], v[138:139], v[2:3]
	v_add_f64 v[22:23], v[136:137], v[0:1]
	v_mul_f64 v[76:77], v[72:73], s[0:1]
	v_mul_f64 v[84:85], v[70:71], s[16:17]
	;; [unrolled: 1-line block ×4, first 2 shown]
	v_add_f64 v[28:29], v[254:255], v[28:29]
	v_add_f64 v[24:25], v[62:63], v[24:25]
	v_add_f64 v[20:21], v[146:147], v[20:21]
	v_add_f64 v[22:23], v[144:145], v[22:23]
	v_mul_f64 v[146:147], v[208:209], s[12:13]
	v_add_f64 v[20:21], v[150:151], v[20:21]
	v_add_f64 v[22:23], v[148:149], v[22:23]
	v_mul_f64 v[148:149], v[206:207], s[14:15]
	v_add_f64 v[20:21], v[142:143], v[20:21]
	v_add_f64 v[22:23], v[140:141], v[22:23]
	v_mul_f64 v[140:141], v[250:251], s[20:21]
	v_add_f64 v[26:27], v[154:155], v[20:21]
	v_mul_f64 v[20:21], v[238:239], s[12:13]
	;; [unrolled: 2-line block ×3, first 2 shown]
	v_add_f64 v[14:15], v[14:15], v[26:27]
	v_add_f64 v[20:21], v[86:87], v[20:21]
	;; [unrolled: 1-line block ×6, first 2 shown]
	v_add_f64 v[12:13], v[148:149], -v[224:225]
	v_add_f64 v[6:7], v[10:11], v[6:7]
	v_add_f64 v[4:5], v[8:9], v[4:5]
	;; [unrolled: 1-line block ×4, first 2 shown]
	s_waitcnt vmcnt(14)
	v_add_f64 v[30:31], v[32:33], v[30:31]
	v_mul_f64 v[32:33], v[228:229], s[20:21]
	v_add_f64 v[6:7], v[110:111], v[6:7]
	v_add_f64 v[4:5], v[108:109], v[4:5]
	s_waitcnt vmcnt(12)
	v_add_f64 v[32:33], v[34:35], v[32:33]
	v_mul_f64 v[34:35], v[202:203], s[0:1]
	v_add_f64 v[6:7], v[114:115], v[6:7]
	v_add_f64 v[4:5], v[112:113], v[4:5]
	;; [unrolled: 5-line block ×5, first 2 shown]
	v_add_f64 v[38:39], v[38:39], v[2:3]
	v_add_f64 v[40:41], v[40:41], -v[82:83]
	v_mul_f64 v[82:83], v[248:249], s[16:17]
	v_add_f64 v[4:5], v[128:129], v[4:5]
	v_add_f64 v[36:37], v[36:37], v[38:39]
	v_mul_f64 v[38:39], v[206:207], s[24:25]
	v_add_f64 v[34:35], v[34:35], v[36:37]
	v_mul_f64 v[36:37], v[198:199], s[0:1]
	v_add_f64 v[38:39], v[38:39], -v[60:61]
	v_add_f64 v[32:33], v[32:33], v[34:35]
	s_waitcnt vmcnt(4)
	v_add_f64 v[36:37], v[36:37], -v[42:43]
	v_mul_f64 v[42:43], v[54:55], s[22:23]
	v_add_f64 v[30:31], v[30:31], v[32:33]
	v_mul_f64 v[32:33], v[66:67], s[16:17]
	s_waitcnt vmcnt(2)
	v_add_f64 v[42:43], v[42:43], -v[44:45]
	v_mul_f64 v[44:45], v[68:69], s[18:19]
	v_add_f64 v[28:29], v[28:29], v[30:31]
	v_add_f64 v[32:33], v[32:33], -v[242:243]
	v_add_f64 v[34:35], v[42:43], v[0:1]
	s_waitcnt vmcnt(0)
	v_add_f64 v[44:45], v[44:45], -v[46:47]
	v_mul_f64 v[42:43], v[226:227], s[20:21]
	v_add_f64 v[24:25], v[24:25], v[28:29]
	v_mul_f64 v[28:29], v[228:229], s[12:13]
	v_add_f64 v[34:35], v[34:35], v[44:45]
	buffer_load_dword v44, off, s[60:63], 0 offset:1128 ; 4-byte Folded Reload
	buffer_load_dword v45, off, s[60:63], 0 offset:1132 ; 4-byte Folded Reload
	v_add_f64 v[20:21], v[20:21], v[24:25]
	v_add_f64 v[34:35], v[36:37], v[34:35]
	v_mul_f64 v[36:37], v[248:249], s[14:15]
	s_waitcnt vmcnt(0)
	v_add_f64 v[42:43], v[42:43], -v[44:45]
	buffer_load_dword v44, off, s[60:63], 0 offset:1232 ; 4-byte Folded Reload
	buffer_load_dword v45, off, s[60:63], 0 offset:1236 ; 4-byte Folded Reload
	v_add_f64 v[34:35], v[42:43], v[34:35]
	buffer_load_dword v42, off, s[60:63], 0 offset:1024 ; 4-byte Folded Reload
	buffer_load_dword v43, off, s[60:63], 0 offset:1028 ; 4-byte Folded Reload
	s_waitcnt vmcnt(2)
	v_add_f64 v[36:37], v[36:37], -v[44:45]
	v_add_f64 v[34:35], v[36:37], v[34:35]
	v_mul_f64 v[36:37], v[202:203], s[16:17]
	v_add_f64 v[30:31], v[32:33], v[34:35]
	buffer_load_dword v34, off, s[60:63], 0 offset:744 ; 4-byte Folded Reload
	buffer_load_dword v35, off, s[60:63], 0 offset:748 ; 4-byte Folded Reload
	s_waitcnt vmcnt(2)
	v_add_f64 v[36:37], v[42:43], v[36:37]
	buffer_load_dword v42, off, s[60:63], 0 offset:888 ; 4-byte Folded Reload
	buffer_load_dword v43, off, s[60:63], 0 offset:892 ; 4-byte Folded Reload
	v_mul_f64 v[32:33], v[56:57], s[18:19]
	v_add_f64 v[30:31], v[38:39], v[30:31]
	s_waitcnt vmcnt(2)
	v_add_f64 v[32:33], v[34:35], v[32:33]
	v_mul_f64 v[34:35], v[70:71], s[20:21]
	v_add_f64 v[32:33], v[32:33], v[2:3]
	s_waitcnt vmcnt(0)
	v_add_f64 v[34:35], v[42:43], v[34:35]
	v_add_f64 v[32:33], v[34:35], v[32:33]
	buffer_load_dword v34, off, s[60:63], 0 offset:1120 ; 4-byte Folded Reload
	buffer_load_dword v35, off, s[60:63], 0 offset:1124 ; 4-byte Folded Reload
	v_add_f64 v[32:33], v[36:37], v[32:33]
	buffer_load_dword v36, off, s[60:63], 0 offset:1224 ; 4-byte Folded Reload
	buffer_load_dword v37, off, s[60:63], 0 offset:1228 ; 4-byte Folded Reload
	s_waitcnt vmcnt(2)
	v_add_f64 v[28:29], v[34:35], v[28:29]
	v_mul_f64 v[34:35], v[250:251], s[24:25]
	v_add_f64 v[28:29], v[28:29], v[32:33]
	s_waitcnt vmcnt(0)
	v_add_f64 v[34:35], v[36:37], v[34:35]
	buffer_load_dword v36, off, s[60:63], 0 offset:1016 ; 4-byte Folded Reload
	buffer_load_dword v37, off, s[60:63], 0 offset:1020 ; 4-byte Folded Reload
	buffer_load_dword v38, off, s[60:63], 0 offset:712 ; 4-byte Folded Reload
	buffer_load_dword v39, off, s[60:63], 0 offset:716 ; 4-byte Folded Reload
	buffer_load_dword v42, off, s[60:63], 0 offset:864 ; 4-byte Folded Reload
	buffer_load_dword v43, off, s[60:63], 0 offset:868 ; 4-byte Folded Reload
	v_mul_f64 v[32:33], v[72:73], s[14:15]
	v_add_f64 v[28:29], v[34:35], v[28:29]
	v_mul_f64 v[34:35], v[208:209], s[0:1]
	v_add_f64 v[32:33], v[240:241], v[32:33]
	v_add_f64 v[34:35], v[52:53], v[34:35]
	v_add_f64 v[28:29], v[32:33], v[28:29]
	v_mul_f64 v[32:33], v[238:239], s[22:23]
	v_add_f64 v[28:29], v[34:35], v[28:29]
	v_mul_f64 v[34:35], v[198:199], s[16:17]
	v_add_f64 v[32:33], v[103:104], v[32:33]
	;; [unrolled: 2-line block ×3, first 2 shown]
	s_waitcnt vmcnt(4)
	v_add_f64 v[34:35], v[34:35], -v[36:37]
	v_mul_f64 v[36:37], v[54:55], s[18:19]
	s_waitcnt vmcnt(2)
	v_add_f64 v[36:37], v[36:37], -v[38:39]
	v_mul_f64 v[38:39], v[68:69], s[20:21]
	v_add_f64 v[36:37], v[36:37], v[0:1]
	s_waitcnt vmcnt(0)
	v_add_f64 v[38:39], v[38:39], -v[42:43]
	buffer_load_dword v42, off, s[60:63], 0 offset:1112 ; 4-byte Folded Reload
	buffer_load_dword v43, off, s[60:63], 0 offset:1116 ; 4-byte Folded Reload
	v_add_f64 v[36:37], v[36:37], v[38:39]
	v_mul_f64 v[38:39], v[226:227], s[12:13]
	v_add_f64 v[34:35], v[34:35], v[36:37]
	v_mul_f64 v[36:37], v[248:249], s[24:25]
	s_waitcnt vmcnt(0)
	v_add_f64 v[38:39], v[38:39], -v[42:43]
	buffer_load_dword v42, off, s[60:63], 0 offset:1216 ; 4-byte Folded Reload
	buffer_load_dword v43, off, s[60:63], 0 offset:1220 ; 4-byte Folded Reload
	v_add_f64 v[34:35], v[38:39], v[34:35]
	v_mul_f64 v[38:39], v[66:67], s[14:15]
	v_add_f64 v[38:39], v[38:39], -v[234:235]
	s_waitcnt vmcnt(0)
	v_add_f64 v[36:37], v[36:37], -v[42:43]
	buffer_load_dword v42, off, s[60:63], 0 offset:1000 ; 4-byte Folded Reload
	buffer_load_dword v43, off, s[60:63], 0 offset:1004 ; 4-byte Folded Reload
	buffer_load_dword v44, off, s[60:63], 0 offset:696 ; 4-byte Folded Reload
	buffer_load_dword v45, off, s[60:63], 0 offset:700 ; 4-byte Folded Reload
	buffer_load_dword v46, off, s[60:63], 0 offset:848 ; 4-byte Folded Reload
	buffer_load_dword v47, off, s[60:63], 0 offset:852 ; 4-byte Folded Reload
	v_add_f64 v[34:35], v[36:37], v[34:35]
	v_mul_f64 v[36:37], v[206:207], s[0:1]
	v_add_f64 v[34:35], v[38:39], v[34:35]
	v_add_f64 v[36:37], v[36:37], -v[50:51]
	v_mul_f64 v[38:39], v[236:237], s[22:23]
	v_add_f64 v[34:35], v[36:37], v[34:35]
	v_mul_f64 v[36:37], v[202:203], s[18:19]
	v_add_f64 v[38:39], v[38:39], -v[97:98]
	s_waitcnt vmcnt(4)
	v_add_f64 v[36:37], v[42:43], v[36:37]
	v_mul_f64 v[42:43], v[56:57], s[14:15]
	s_waitcnt vmcnt(2)
	v_add_f64 v[42:43], v[44:45], v[42:43]
	v_mul_f64 v[44:45], v[70:71], s[24:25]
	v_add_f64 v[42:43], v[42:43], v[2:3]
	s_waitcnt vmcnt(0)
	v_add_f64 v[44:45], v[46:47], v[44:45]
	buffer_load_dword v46, off, s[60:63], 0 offset:1096 ; 4-byte Folded Reload
	buffer_load_dword v47, off, s[60:63], 0 offset:1100 ; 4-byte Folded Reload
	v_add_f64 v[42:43], v[44:45], v[42:43]
	v_mul_f64 v[44:45], v[228:229], s[0:1]
	v_add_f64 v[36:37], v[36:37], v[42:43]
	v_mul_f64 v[42:43], v[250:251], s[12:13]
	s_waitcnt vmcnt(0)
	v_add_f64 v[44:45], v[46:47], v[44:45]
	buffer_load_dword v46, off, s[60:63], 0 offset:1200 ; 4-byte Folded Reload
	buffer_load_dword v47, off, s[60:63], 0 offset:1204 ; 4-byte Folded Reload
	v_add_f64 v[36:37], v[44:45], v[36:37]
	v_mul_f64 v[44:45], v[72:73], s[20:21]
	v_add_f64 v[44:45], v[232:233], v[44:45]
	s_waitcnt vmcnt(0)
	v_add_f64 v[42:43], v[46:47], v[42:43]
	v_mul_f64 v[46:47], v[198:199], s[18:19]
	v_add_f64 v[36:37], v[42:43], v[36:37]
	v_mul_f64 v[42:43], v[208:209], s[22:23]
	v_add_f64 v[36:37], v[44:45], v[36:37]
	v_add_f64 v[42:43], v[48:49], v[42:43]
	buffer_load_dword v48, off, s[60:63], 0 offset:992 ; 4-byte Folded Reload
	buffer_load_dword v49, off, s[60:63], 0 offset:996 ; 4-byte Folded Reload
	;; [unrolled: 1-line block ×6, first 2 shown]
	v_mul_f64 v[44:45], v[238:239], s[16:17]
	v_add_f64 v[36:37], v[42:43], v[36:37]
	v_mul_f64 v[42:43], v[66:67], s[20:21]
	v_add_f64 v[44:45], v[95:96], v[44:45]
	v_mul_f64 v[95:96], v[198:199], s[24:25]
	v_add_f64 v[42:43], v[42:43], -v[230:231]
	v_add_f64 v[28:29], v[44:45], v[36:37]
	s_waitcnt vmcnt(4)
	v_add_f64 v[46:47], v[46:47], -v[48:49]
	v_mul_f64 v[48:49], v[54:55], s[14:15]
	s_waitcnt vmcnt(2)
	v_add_f64 v[48:49], v[48:49], -v[50:51]
	v_mul_f64 v[50:51], v[68:69], s[24:25]
	v_add_f64 v[48:49], v[48:49], v[0:1]
	s_waitcnt vmcnt(0)
	v_add_f64 v[50:51], v[50:51], -v[52:53]
	buffer_load_dword v52, off, s[60:63], 0 offset:1088 ; 4-byte Folded Reload
	buffer_load_dword v53, off, s[60:63], 0 offset:1092 ; 4-byte Folded Reload
	v_add_f64 v[48:49], v[48:49], v[50:51]
	v_mul_f64 v[50:51], v[226:227], s[0:1]
	v_add_f64 v[46:47], v[46:47], v[48:49]
	v_mul_f64 v[48:49], v[248:249], s[12:13]
	s_waitcnt vmcnt(0)
	v_add_f64 v[50:51], v[50:51], -v[52:53]
	buffer_load_dword v52, off, s[60:63], 0 offset:1192 ; 4-byte Folded Reload
	buffer_load_dword v53, off, s[60:63], 0 offset:1196 ; 4-byte Folded Reload
	v_add_f64 v[46:47], v[50:51], v[46:47]
	v_mul_f64 v[50:51], v[202:203], s[24:25]
	s_waitcnt vmcnt(0)
	v_add_f64 v[48:49], v[48:49], -v[52:53]
	buffer_load_dword v52, off, s[60:63], 0 offset:984 ; 4-byte Folded Reload
	buffer_load_dword v53, off, s[60:63], 0 offset:988 ; 4-byte Folded Reload
	;; [unrolled: 1-line block ×6, first 2 shown]
	v_add_f64 v[46:47], v[48:49], v[46:47]
	v_mul_f64 v[48:49], v[54:55], s[0:1]
	v_add_f64 v[42:43], v[42:43], v[46:47]
	v_mul_f64 v[46:47], v[54:55], s[16:17]
	v_mul_f64 v[54:55], v[54:55], s[12:13]
	s_waitcnt vmcnt(4)
	v_add_f64 v[50:51], v[52:53], v[50:51]
	v_mul_f64 v[52:53], v[56:57], s[12:13]
	s_waitcnt vmcnt(2)
	v_add_f64 v[52:53], v[60:61], v[52:53]
	v_mul_f64 v[60:61], v[70:71], s[22:23]
	v_mul_f64 v[70:71], v[70:71], s[14:15]
	v_add_f64 v[52:53], v[52:53], v[2:3]
	s_waitcnt vmcnt(0)
	v_add_f64 v[60:61], v[62:63], v[60:61]
	buffer_load_dword v62, off, s[60:63], 0 offset:1080 ; 4-byte Folded Reload
	buffer_load_dword v63, off, s[60:63], 0 offset:1084 ; 4-byte Folded Reload
	;; [unrolled: 1-line block ×30, first 2 shown]
	v_add_f64 v[52:53], v[60:61], v[52:53]
	v_mul_f64 v[60:61], v[228:229], s[18:19]
	v_add_f64 v[50:51], v[50:51], v[52:53]
	v_mul_f64 v[52:53], v[250:251], s[16:17]
	s_waitcnt vmcnt(28)
	v_add_f64 v[60:61], v[62:63], v[60:61]
	s_waitcnt vmcnt(26)
	v_add_f64 v[52:53], v[78:79], v[52:53]
	;; [unrolled: 2-line block ×3, first 2 shown]
	v_mul_f64 v[62:63], v[206:207], s[22:23]
	v_mul_f64 v[78:79], v[56:57], s[0:1]
	s_waitcnt vmcnt(18)
	v_add_f64 v[54:55], v[54:55], -v[90:91]
	v_mul_f64 v[56:57], v[56:57], s[16:17]
	v_mul_f64 v[80:81], v[208:209], s[14:15]
	v_add_f64 v[50:51], v[60:61], v[50:51]
	s_waitcnt vmcnt(12)
	v_add_f64 v[95:96], v[95:96], -v[105:106]
	s_waitcnt vmcnt(10)
	v_add_f64 v[70:71], v[136:137], v[70:71]
	v_add_f64 v[62:63], v[62:63], -v[156:157]
	v_add_f64 v[82:83], v[82:83], -v[86:87]
	v_add_f64 v[54:55], v[54:55], v[0:1]
	v_add_f64 v[56:57], v[99:100], v[56:57]
	;; [unrolled: 1-line block ×4, first 2 shown]
	v_mul_f64 v[52:53], v[68:69], s[16:17]
	v_mul_f64 v[86:87], v[198:199], s[12:13]
	v_add_f64 v[42:43], v[62:63], v[42:43]
	v_mul_f64 v[62:63], v[226:227], s[18:19]
	v_mul_f64 v[90:91], v[198:199], s[22:23]
	v_add_f64 v[56:57], v[56:57], v[2:3]
	v_mul_f64 v[99:100], v[228:229], s[14:15]
	v_add_f64 v[50:51], v[76:77], v[50:51]
	v_mul_f64 v[76:77], v[68:69], s[14:15]
	v_mul_f64 v[68:69], v[68:69], s[22:23]
	;; [unrolled: 1-line block ×3, first 2 shown]
	v_add_f64 v[62:63], v[62:63], -v[88:89]
	v_mul_f64 v[88:89], v[202:203], s[12:13]
	v_add_f64 v[56:57], v[70:71], v[56:57]
	v_mul_f64 v[70:71], v[66:67], s[18:19]
	v_add_f64 v[44:45], v[80:81], v[50:51]
	buffer_load_dword v50, off, s[60:63], 0 offset:1280 ; 4-byte Folded Reload
	buffer_load_dword v51, off, s[60:63], 0 offset:1284 ; 4-byte Folded Reload
	v_add_f64 v[68:69], v[68:69], -v[97:98]
	v_mul_f64 v[97:98], v[226:227], s[14:15]
	v_add_f64 v[60:61], v[60:61], -v[92:93]
	v_mul_f64 v[92:93], v[202:203], s[22:23]
	v_mul_f64 v[136:137], v[250:251], s[18:19]
	;; [unrolled: 1-line block ×3, first 2 shown]
	s_waitcnt vmcnt(8)
	v_add_f64 v[103:104], v[144:145], v[103:104]
	s_waitcnt vmcnt(6)
	v_add_f64 v[140:141], v[150:151], v[140:141]
	v_add_f64 v[54:55], v[54:55], v[68:69]
	v_mul_f64 v[68:69], v[66:67], s[22:23]
	v_mul_f64 v[66:67], v[66:67], s[0:1]
	v_add_f64 v[92:93], v[142:143], v[92:93]
	v_mul_f64 v[142:143], v[72:73], s[22:23]
	v_mul_f64 v[72:73], v[72:73], s[18:19]
	;; [unrolled: 1-line block ×4, first 2 shown]
	v_add_f64 v[54:55], v[95:96], v[54:55]
	v_mul_f64 v[95:96], v[206:207], s[20:21]
	s_waitcnt vmcnt(2)
	v_add_f64 v[26:27], v[66:67], -v[26:27]
	v_add_f64 v[56:57], v[92:93], v[56:57]
	v_mul_f64 v[92:93], v[206:207], s[12:13]
	v_add_f64 v[72:73], v[152:153], v[72:73]
	v_mul_f64 v[152:153], v[238:239], s[0:1]
	v_mul_f64 v[156:157], v[236:237], s[20:21]
	v_add_f64 v[54:55], v[62:63], v[54:55]
	v_mul_f64 v[62:63], v[236:237], s[24:25]
	v_add_f64 v[56:57], v[103:104], v[56:57]
	v_mul_f64 v[103:104], v[236:237], s[0:1]
	v_add_f64 v[36:37], v[82:83], v[54:55]
	v_add_f64 v[54:55], v[156:157], -v[64:65]
	v_add_f64 v[32:33], v[140:141], v[56:57]
	v_add_f64 v[14:15], v[26:27], v[36:37]
	buffer_load_dword v36, off, s[60:63], 0 offset:552 ; 4-byte Folded Reload
	buffer_load_dword v37, off, s[60:63], 0 offset:556 ; 4-byte Folded Reload
	;; [unrolled: 1-line block ×6, first 2 shown]
	v_add_f64 v[32:33], v[72:73], v[32:33]
	v_add_f64 v[26:27], v[58:59], v[152:153]
	s_waitcnt vmcnt(6)
	v_add_f64 v[50:51], v[50:51], v[146:147]
	v_add_f64 v[32:33], v[50:51], v[32:33]
	;; [unrolled: 1-line block ×5, first 2 shown]
	s_waitcnt vmcnt(4)
	v_add_f64 v[36:37], v[36:37], v[78:79]
	s_waitcnt vmcnt(2)
	v_add_f64 v[8:9], v[48:49], -v[8:9]
	s_waitcnt vmcnt(0)
	v_add_f64 v[10:11], v[46:47], -v[10:11]
	buffer_load_dword v46, off, s[60:63], 0 offset:648 ; 4-byte Folded Reload
	buffer_load_dword v47, off, s[60:63], 0 offset:652 ; 4-byte Folded Reload
	;; [unrolled: 1-line block ×4, first 2 shown]
	v_add_f64 v[2:3], v[36:37], v[2:3]
	buffer_load_dword v36, off, s[60:63], 0 offset:616 ; 4-byte Folded Reload
	buffer_load_dword v37, off, s[60:63], 0 offset:620 ; 4-byte Folded Reload
	v_add_f64 v[8:9], v[8:9], v[0:1]
	v_add_f64 v[0:1], v[10:11], v[0:1]
	buffer_load_dword v10, off, s[60:63], 0 offset:816 ; 4-byte Folded Reload
	buffer_load_dword v11, off, s[60:63], 0 offset:820 ; 4-byte Folded Reload
	;; [unrolled: 1-line block ×6, first 2 shown]
	s_waitcnt vmcnt(10)
	v_add_f64 v[46:47], v[76:77], -v[46:47]
	s_waitcnt vmcnt(8)
	v_add_f64 v[48:49], v[48:49], v[84:85]
	s_waitcnt vmcnt(6)
	v_add_f64 v[36:37], v[52:53], -v[36:37]
	v_add_f64 v[0:1], v[0:1], v[46:47]
	v_add_f64 v[2:3], v[48:49], v[2:3]
	s_waitcnt vmcnt(2)
	v_add_f64 v[16:17], v[16:17], v[88:89]
	v_add_f64 v[10:11], v[90:91], -v[10:11]
	s_waitcnt vmcnt(0)
	v_add_f64 v[18:19], v[86:87], -v[18:19]
	v_add_f64 v[48:49], v[62:63], -v[244:245]
	v_add_f64 v[8:9], v[8:9], v[36:37]
	buffer_load_dword v36, off, s[60:63], 0 offset:976 ; 4-byte Folded Reload
	buffer_load_dword v37, off, s[60:63], 0 offset:980 ; 4-byte Folded Reload
	;; [unrolled: 1-line block ×4, first 2 shown]
	v_add_f64 v[2:3], v[16:17], v[2:3]
	buffer_load_dword v16, off, s[60:63], 0 offset:952 ; 4-byte Folded Reload
	buffer_load_dword v17, off, s[60:63], 0 offset:956 ; 4-byte Folded Reload
	v_add_f64 v[0:1], v[10:11], v[0:1]
	buffer_load_dword v10, off, s[60:63], 0 offset:1072 ; 4-byte Folded Reload
	buffer_load_dword v11, off, s[60:63], 0 offset:1076 ; 4-byte Folded Reload
	;; [unrolled: 3-line block ×3, first 2 shown]
	s_waitcnt vmcnt(8)
	v_add_f64 v[36:37], v[101:102], -v[36:37]
	s_waitcnt vmcnt(6)
	v_add_f64 v[46:47], v[46:47], v[99:100]
	s_waitcnt vmcnt(4)
	v_add_f64 v[16:17], v[97:98], -v[16:17]
	s_waitcnt vmcnt(2)
	v_add_f64 v[10:11], v[138:139], -v[10:11]
	v_add_f64 v[0:1], v[36:37], v[0:1]
	v_add_f64 v[2:3], v[46:47], v[2:3]
	buffer_load_dword v46, off, s[60:63], 0 offset:1056 ; 4-byte Folded Reload
	buffer_load_dword v47, off, s[60:63], 0 offset:1060 ; 4-byte Folded Reload
	s_waitcnt vmcnt(2)
	v_add_f64 v[18:19], v[18:19], v[136:137]
	v_add_f64 v[8:9], v[16:17], v[8:9]
	buffer_load_dword v16, off, s[60:63], 0 offset:1168 ; 4-byte Folded Reload
	buffer_load_dword v17, off, s[60:63], 0 offset:1172 ; 4-byte Folded Reload
	;; [unrolled: 1-line block ×4, first 2 shown]
	v_add_f64 v[0:1], v[10:11], v[0:1]
	v_add_f64 v[2:3], v[18:19], v[2:3]
	buffer_load_dword v18, off, s[60:63], 0 offset:1136 ; 4-byte Folded Reload
	buffer_load_dword v19, off, s[60:63], 0 offset:1140 ; 4-byte Folded Reload
	;; [unrolled: 1-line block ×4, first 2 shown]
	s_waitcnt vmcnt(8)
	v_add_f64 v[46:47], v[105:106], -v[46:47]
	s_waitcnt vmcnt(6)
	v_add_f64 v[16:17], v[70:71], -v[16:17]
	s_waitcnt vmcnt(4)
	v_add_f64 v[36:37], v[36:37], v[142:143]
	v_add_f64 v[8:9], v[46:47], v[8:9]
	buffer_load_dword v46, off, s[60:63], 0 offset:1248 ; 4-byte Folded Reload
	buffer_load_dword v47, off, s[60:63], 0 offset:1252 ; 4-byte Folded Reload
	s_waitcnt vmcnt(4)
	v_add_f64 v[18:19], v[68:69], -v[18:19]
	s_waitcnt vmcnt(2)
	v_add_f64 v[10:11], v[92:93], -v[10:11]
	v_add_f64 v[2:3], v[36:37], v[2:3]
	buffer_load_dword v36, off, s[60:63], 0 offset:1240 ; 4-byte Folded Reload
	buffer_load_dword v37, off, s[60:63], 0 offset:1244 ; 4-byte Folded Reload
	v_add_f64 v[0:1], v[16:17], v[0:1]
	v_add_f64 v[16:17], v[103:104], -v[158:159]
	v_add_f64 v[8:9], v[18:19], v[8:9]
	v_add_f64 v[18:19], v[246:247], v[150:151]
	;; [unrolled: 1-line block ×3, first 2 shown]
	s_waitcnt vmcnt(2)
	v_add_f64 v[46:47], v[46:47], v[144:145]
	s_waitcnt vmcnt(0)
	v_add_f64 v[36:37], v[95:96], -v[36:37]
	v_add_f64 v[46:47], v[46:47], v[2:3]
	v_add_f64 v[2:3], v[22:23], v[44:45]
	;; [unrolled: 1-line block ×10, first 2 shown]
	v_lshl_add_u32 v16, v160, 4, v196
	v_add_f64 v[8:9], v[48:49], v[8:9]
	v_add_f64 v[0:1], v[54:55], v[36:37]
	ds_write_b128 v16, v[12:15]
	ds_write_b128 v16, v[8:11] offset:16
	ds_write_b128 v16, v[4:7] offset:32
	;; [unrolled: 1-line block ×6, first 2 shown]
	buffer_load_dword v0, off, s[60:63], 0 offset:100 ; 4-byte Folded Reload
	buffer_load_dword v1, off, s[60:63], 0 offset:104 ; 4-byte Folded Reload
	;; [unrolled: 1-line block ×4, first 2 shown]
	s_waitcnt vmcnt(0)
	ds_write_b128 v16, v[0:3] offset:112
	ds_write_b128 v16, v[214:217] offset:128
	;; [unrolled: 1-line block ×3, first 2 shown]
	buffer_load_dword v0, off, s[60:63], 0 offset:116 ; 4-byte Folded Reload
	buffer_load_dword v1, off, s[60:63], 0 offset:120 ; 4-byte Folded Reload
	buffer_load_dword v2, off, s[60:63], 0 offset:124 ; 4-byte Folded Reload
	buffer_load_dword v3, off, s[60:63], 0 offset:128 ; 4-byte Folded Reload
	s_waitcnt vmcnt(0)
	ds_write_b128 v16, v[0:3] offset:160
	buffer_load_dword v0, off, s[60:63], 0 offset:84 ; 4-byte Folded Reload
	buffer_load_dword v1, off, s[60:63], 0 offset:88 ; 4-byte Folded Reload
	buffer_load_dword v2, off, s[60:63], 0 offset:92 ; 4-byte Folded Reload
	buffer_load_dword v3, off, s[60:63], 0 offset:96 ; 4-byte Folded Reload
	s_waitcnt vmcnt(0)
	ds_write_b128 v16, v[0:3] offset:176
	;; [unrolled: 6-line block ×7, first 2 shown]
.LBB0_7:
	s_or_b64 exec, exec, s[26:27]
	s_waitcnt lgkmcnt(0)
	; wave barrier
	s_waitcnt lgkmcnt(0)
	ds_read_b128 v[28:31], v107
	ds_read_b128 v[48:51], v107 offset:2176
	ds_read_b128 v[52:55], v107 offset:4352
	;; [unrolled: 1-line block ×23, first 2 shown]
	buffer_load_dword v158, off, s[60:63], 0 ; 4-byte Folded Reload
	s_movk_i32 s0, 0xf1
	s_mov_b32 s13, 0xbfebb67a
	s_add_u32 s6, s6, 0x1980
	s_addc_u32 s7, s7, 0
	s_waitcnt vmcnt(0)
	v_lshlrev_b32_e32 v72, 5, v158
	global_load_dwordx4 v[227:230], v72, s[4:5] offset:16
	global_load_dwordx4 v[112:115], v72, s[4:5]
	s_waitcnt vmcnt(0) lgkmcnt(14)
	v_mul_f64 v[72:73], v[50:51], v[114:115]
	v_fma_f64 v[101:102], v[48:49], v[112:113], -v[72:73]
	v_mul_f64 v[48:49], v[48:49], v[114:115]
	v_fma_f64 v[103:104], v[50:51], v[112:113], v[48:49]
	v_mul_f64 v[48:49], v[54:55], v[229:230]
	v_fma_f64 v[105:106], v[52:53], v[227:228], -v[48:49]
	v_mul_f64 v[48:49], v[52:53], v[229:230]
	v_fma_f64 v[118:119], v[54:55], v[227:228], v[48:49]
	;; [unrolled: 4-line block ×4, first 2 shown]
	v_add_u16_e32 v48, 34, v158
	v_mul_lo_u16_sdwa v49, v48, s0 dst_sel:DWORD dst_unused:UNUSED_PAD src0_sel:BYTE_0 src1_sel:DWORD
	v_lshrrev_b16_e32 v49, 12, v49
	v_mul_lo_u16_e32 v49, 17, v49
	v_sub_u16_e32 v122, v48, v49
	v_lshlrev_b16_e32 v48, 1, v122
	v_and_b32_e32 v48, 0xfe, v48
	v_lshlrev_b32_e32 v48, 4, v48
	global_load_dwordx4 v[161:164], v48, s[4:5] offset:16
	global_load_dwordx4 v[165:168], v48, s[4:5]
	s_waitcnt vmcnt(0)
	v_mul_f64 v[48:49], v[66:67], v[167:168]
	v_fma_f64 v[80:81], v[64:65], v[165:166], -v[48:49]
	v_mul_f64 v[48:49], v[64:65], v[167:168]
	v_fma_f64 v[82:83], v[66:67], v[165:166], v[48:49]
	v_mul_f64 v[48:49], v[70:71], v[163:164]
	v_fma_f64 v[84:85], v[68:69], v[161:162], -v[48:49]
	v_mul_f64 v[48:49], v[68:69], v[163:164]
	v_fma_f64 v[88:89], v[70:71], v[161:162], v[48:49]
	v_add_u16_e32 v48, 51, v158
	v_mul_lo_u16_sdwa v49, v48, s0 dst_sel:DWORD dst_unused:UNUSED_PAD src0_sel:BYTE_0 src1_sel:DWORD
	v_lshrrev_b16_e32 v49, 12, v49
	v_mul_lo_u16_e32 v49, 17, v49
	v_sub_u16_e32 v123, v48, v49
	v_lshlrev_b16_e32 v48, 1, v123
	v_and_b32_e32 v48, 0xfe, v48
	v_lshlrev_b32_e32 v48, 4, v48
	global_load_dwordx4 v[169:172], v48, s[4:5] offset:16
	global_load_dwordx4 v[173:176], v48, s[4:5]
	s_waitcnt vmcnt(0) lgkmcnt(13)
	v_mul_f64 v[48:49], v[76:77], v[175:176]
	v_fma_f64 v[72:73], v[74:75], v[173:174], -v[48:49]
	v_mul_f64 v[48:49], v[74:75], v[175:176]
	v_fma_f64 v[74:75], v[76:77], v[173:174], v[48:49]
	s_waitcnt lgkmcnt(12)
	v_mul_f64 v[48:49], v[99:100], v[171:172]
	v_fma_f64 v[76:77], v[97:98], v[169:170], -v[48:49]
	v_mul_f64 v[48:49], v[97:98], v[171:172]
	v_fma_f64 v[78:79], v[99:100], v[169:170], v[48:49]
	v_add_u16_e32 v48, 0x44, v158
	v_mul_lo_u16_sdwa v49, v48, s0 dst_sel:DWORD dst_unused:UNUSED_PAD src0_sel:BYTE_0 src1_sel:DWORD
	v_lshrrev_b16_e32 v49, 12, v49
	v_mul_lo_u16_e32 v49, 17, v49
	v_sub_u16_e32 v124, v48, v49
	v_lshlrev_b16_e32 v48, 1, v124
	v_and_b32_e32 v48, 0xfe, v48
	v_lshlrev_b32_e32 v48, 4, v48
	global_load_dwordx4 v[177:180], v48, s[4:5] offset:16
	global_load_dwordx4 v[181:184], v48, s[4:5]
	s_waitcnt vmcnt(0) lgkmcnt(10)
	v_mul_f64 v[48:49], v[127:128], v[183:184]
	v_fma_f64 v[64:65], v[125:126], v[181:182], -v[48:49]
	v_mul_f64 v[48:49], v[125:126], v[183:184]
	v_fma_f64 v[66:67], v[127:128], v[181:182], v[48:49]
	s_waitcnt lgkmcnt(9)
	;; [unrolled: 20-line block ×4, first 2 shown]
	v_mul_f64 v[44:45], v[42:43], v[200:201]
	v_add_f64 v[46:47], v[90:91], v[95:96]
	v_fma_f64 v[52:53], v[40:41], v[198:199], -v[44:45]
	v_mul_f64 v[40:41], v[40:41], v[200:201]
	v_fma_f64 v[54:55], v[42:43], v[198:199], v[40:41]
	v_add_u16_e32 v40, 0x77, v158
	v_mul_lo_u16_sdwa v41, v40, s0 dst_sel:DWORD dst_unused:UNUSED_PAD src0_sel:BYTE_0 src1_sel:DWORD
	v_lshrrev_b16_e32 v41, 12, v41
	v_mul_lo_u16_e32 v41, 17, v41
	v_sub_u16_e32 v127, v40, v41
	v_lshlrev_b16_e32 v40, 1, v127
	v_and_b32_e32 v40, 0xfe, v40
	v_lshlrev_b32_e32 v40, 4, v40
	global_load_dwordx4 v[206:209], v40, s[4:5] offset:16
	global_load_dwordx4 v[222:225], v40, s[4:5]
	s_mov_b32 s0, 0xe8584caa
	s_mov_b32 s1, 0x3febb67a
	;; [unrolled: 1-line block ×3, first 2 shown]
	v_add_f64 v[42:43], v[86:87], v[92:93]
	s_waitcnt lgkmcnt(0)
	; wave barrier
	s_waitcnt vmcnt(0) lgkmcnt(0)
	v_mul_f64 v[40:41], v[38:39], v[224:225]
	v_fma_f64 v[97:98], v[36:37], v[222:223], -v[40:41]
	v_mul_f64 v[36:37], v[36:37], v[224:225]
	v_add_f64 v[40:41], v[101:102], -v[105:106]
	v_fma_f64 v[116:117], v[38:39], v[222:223], v[36:37]
	v_mul_f64 v[36:37], v[34:35], v[208:209]
	v_add_f64 v[38:39], v[103:104], v[118:119]
	v_fma_f64 v[99:100], v[32:33], v[206:207], -v[36:37]
	v_mul_f64 v[32:33], v[32:33], v[208:209]
	v_fma_f64 v[120:121], v[34:35], v[206:207], v[32:33]
	v_add_f64 v[34:35], v[101:102], v[105:106]
	v_add_f64 v[32:33], v[28:29], v[101:102]
	v_fma_f64 v[28:29], v[34:35], -0.5, v[28:29]
	v_add_f64 v[34:35], v[103:104], -v[118:119]
	v_add_f64 v[32:33], v[32:33], v[105:106]
	v_fma_f64 v[36:37], v[34:35], s[0:1], v[28:29]
	v_fma_f64 v[28:29], v[34:35], s[12:13], v[28:29]
	v_add_f64 v[34:35], v[30:31], v[103:104]
	v_fma_f64 v[30:31], v[38:39], -0.5, v[30:31]
	v_add_f64 v[34:35], v[34:35], v[118:119]
	v_fma_f64 v[38:39], v[40:41], s[12:13], v[30:31]
	v_fma_f64 v[30:31], v[40:41], s[0:1], v[30:31]
	v_add_f64 v[40:41], v[24:25], v[86:87]
	v_fma_f64 v[24:25], v[42:43], -0.5, v[24:25]
	v_add_f64 v[42:43], v[90:91], -v[95:96]
	v_add_f64 v[86:87], v[86:87], -v[92:93]
	v_add_f64 v[40:41], v[40:41], v[92:93]
	v_add_f64 v[92:93], v[82:83], -v[88:89]
	v_fma_f64 v[44:45], v[42:43], s[0:1], v[24:25]
	v_fma_f64 v[24:25], v[42:43], s[12:13], v[24:25]
	v_add_f64 v[42:43], v[26:27], v[90:91]
	v_fma_f64 v[26:27], v[46:47], -0.5, v[26:27]
	v_add_f64 v[42:43], v[42:43], v[95:96]
	v_fma_f64 v[46:47], v[86:87], s[12:13], v[26:27]
	v_fma_f64 v[26:27], v[86:87], s[0:1], v[26:27]
	v_add_f64 v[86:87], v[20:21], v[80:81]
	ds_write_b128 v107, v[32:35]
	ds_write_b128 v107, v[36:39] offset:272
	ds_write_b128 v107, v[28:31] offset:544
	;; [unrolled: 1-line block ×5, first 2 shown]
	v_and_b32_e32 v24, 0xff, v122
	v_lshl_add_u32 v159, v24, 4, v196
	v_add_f64 v[90:91], v[86:87], v[84:85]
	v_add_f64 v[86:87], v[80:81], v[84:85]
	v_add_f64 v[80:81], v[80:81], -v[84:85]
	v_add_f64 v[84:85], v[74:75], -v[78:79]
	v_fma_f64 v[86:87], v[86:87], -0.5, v[20:21]
	v_fma_f64 v[20:21], v[92:93], s[0:1], v[86:87]
	v_fma_f64 v[86:87], v[92:93], s[12:13], v[86:87]
	v_add_f64 v[92:93], v[22:23], v[82:83]
	v_add_f64 v[82:83], v[82:83], v[88:89]
	;; [unrolled: 1-line block ×3, first 2 shown]
	v_fma_f64 v[82:83], v[82:83], -0.5, v[22:23]
	v_fma_f64 v[22:23], v[80:81], s[12:13], v[82:83]
	v_fma_f64 v[88:89], v[80:81], s[0:1], v[82:83]
	v_add_f64 v[82:83], v[72:73], v[76:77]
	v_add_f64 v[80:81], v[16:17], v[72:73]
	v_add_f64 v[72:73], v[72:73], -v[76:77]
	ds_write_b128 v159, v[90:93] offset:1632
	ds_write_b128 v159, v[20:23] offset:1904
	;; [unrolled: 1-line block ×3, first 2 shown]
	v_and_b32_e32 v20, 0xff, v123
	v_lshl_add_u32 v193, v20, 4, v196
	v_fma_f64 v[82:83], v[82:83], -0.5, v[16:17]
	v_add_f64 v[80:81], v[80:81], v[76:77]
	v_add_f64 v[76:77], v[66:67], -v[70:71]
	v_fma_f64 v[16:17], v[84:85], s[0:1], v[82:83]
	v_fma_f64 v[101:102], v[84:85], s[12:13], v[82:83]
	v_add_f64 v[82:83], v[18:19], v[74:75]
	v_add_f64 v[74:75], v[74:75], v[78:79]
	v_add_f64 v[84:85], v[97:98], -v[99:100]
	v_add_f64 v[82:83], v[82:83], v[78:79]
	v_fma_f64 v[74:75], v[74:75], -0.5, v[18:19]
	v_fma_f64 v[18:19], v[72:73], s[12:13], v[74:75]
	v_fma_f64 v[103:104], v[72:73], s[0:1], v[74:75]
	v_add_f64 v[74:75], v[64:65], v[68:69]
	v_add_f64 v[72:73], v[12:13], v[64:65]
	v_add_f64 v[64:65], v[64:65], -v[68:69]
	ds_write_b128 v193, v[80:83] offset:2448
	ds_write_b128 v193, v[16:19] offset:2720
	;; [unrolled: 1-line block ×3, first 2 shown]
	v_and_b32_e32 v16, 0xff, v124
	v_lshl_add_u32 v194, v16, 4, v196
	v_fma_f64 v[74:75], v[74:75], -0.5, v[12:13]
	v_add_f64 v[72:73], v[72:73], v[68:69]
	v_add_f64 v[68:69], v[58:59], -v[62:63]
	v_fma_f64 v[12:13], v[76:77], s[0:1], v[74:75]
	v_fma_f64 v[76:77], v[76:77], s[12:13], v[74:75]
	v_add_f64 v[74:75], v[14:15], v[66:67]
	v_add_f64 v[66:67], v[66:67], v[70:71]
	;; [unrolled: 1-line block ×3, first 2 shown]
	v_fma_f64 v[66:67], v[66:67], -0.5, v[14:15]
	v_fma_f64 v[14:15], v[64:65], s[12:13], v[66:67]
	v_fma_f64 v[78:79], v[64:65], s[0:1], v[66:67]
	v_add_f64 v[66:67], v[56:57], v[60:61]
	v_add_f64 v[64:65], v[8:9], v[56:57]
	v_add_f64 v[56:57], v[56:57], -v[60:61]
	ds_write_b128 v194, v[72:75] offset:3264
	ds_write_b128 v194, v[12:15] offset:3536
	;; [unrolled: 1-line block ×3, first 2 shown]
	v_and_b32_e32 v12, 0xff, v125
	v_lshl_add_u32 v195, v12, 4, v196
	v_fma_f64 v[66:67], v[66:67], -0.5, v[8:9]
	v_add_f64 v[64:65], v[64:65], v[60:61]
	v_add_f64 v[60:61], v[50:51], -v[54:55]
	v_fma_f64 v[8:9], v[68:69], s[0:1], v[66:67]
	v_fma_f64 v[68:69], v[68:69], s[12:13], v[66:67]
	v_add_f64 v[66:67], v[10:11], v[58:59]
	v_add_f64 v[58:59], v[58:59], v[62:63]
	;; [unrolled: 1-line block ×3, first 2 shown]
	v_fma_f64 v[58:59], v[58:59], -0.5, v[10:11]
	v_fma_f64 v[10:11], v[56:57], s[12:13], v[58:59]
	v_fma_f64 v[70:71], v[56:57], s[0:1], v[58:59]
	v_add_f64 v[58:59], v[48:49], v[52:53]
	v_add_f64 v[56:57], v[4:5], v[48:49]
	v_add_f64 v[48:49], v[48:49], -v[52:53]
	ds_write_b128 v195, v[64:67] offset:4080
	ds_write_b128 v195, v[8:11] offset:4352
	;; [unrolled: 1-line block ×3, first 2 shown]
	v_mov_b32_e32 v65, s5
	v_mov_b32_e32 v64, s4
	v_fma_f64 v[58:59], v[58:59], -0.5, v[4:5]
	v_add_f64 v[56:57], v[56:57], v[52:53]
	v_add_f64 v[52:53], v[116:117], -v[120:121]
	v_and_b32_e32 v8, 0xff, v126
	v_lshl_add_u32 v226, v8, 4, v196
	s_mov_b32 s5, 0x3fe6a09e
	v_fma_f64 v[4:5], v[60:61], s[0:1], v[58:59]
	v_fma_f64 v[60:61], v[60:61], s[12:13], v[58:59]
	v_add_f64 v[58:59], v[6:7], v[50:51]
	v_add_f64 v[50:51], v[50:51], v[54:55]
	v_add_f64 v[58:59], v[58:59], v[54:55]
	v_fma_f64 v[50:51], v[50:51], -0.5, v[6:7]
	v_add_f64 v[54:55], v[116:117], v[120:121]
	v_fma_f64 v[6:7], v[48:49], s[12:13], v[50:51]
	v_fma_f64 v[62:63], v[48:49], s[0:1], v[50:51]
	v_add_f64 v[50:51], v[97:98], v[99:100]
	v_add_f64 v[48:49], v[0:1], v[97:98]
	v_fma_f64 v[54:55], v[54:55], -0.5, v[2:3]
	ds_write_b128 v226, v[56:59] offset:4896
	ds_write_b128 v226, v[4:7] offset:5168
	;; [unrolled: 1-line block ×3, first 2 shown]
	v_and_b32_e32 v4, 0xff, v127
	v_lshl_add_u32 v196, v4, 4, v196
	v_fma_f64 v[50:51], v[50:51], -0.5, v[0:1]
	v_add_f64 v[48:49], v[48:49], v[99:100]
	v_fma_f64 v[0:1], v[52:53], s[0:1], v[50:51]
	v_fma_f64 v[52:53], v[52:53], s[12:13], v[50:51]
	v_add_f64 v[50:51], v[2:3], v[116:117]
	v_fma_f64 v[2:3], v[84:85], s[12:13], v[54:55]
	v_fma_f64 v[54:55], v[84:85], s[0:1], v[54:55]
	s_movk_i32 s0, 0x70
	v_mad_u64_u32 v[105:106], s[0:1], v158, s0, v[64:65]
	s_movk_i32 s0, 0x770
	v_add_f64 v[50:51], v[50:51], v[120:121]
	ds_write_b128 v196, v[48:51] offset:5712
	ds_write_b128 v196, v[0:3] offset:5984
	;; [unrolled: 1-line block ×3, first 2 shown]
	s_waitcnt lgkmcnt(0)
	; wave barrier
	s_waitcnt lgkmcnt(0)
	ds_read_b128 v[8:11], v107
	ds_read_b128 v[52:55], v107 offset:816
	ds_read_b128 v[56:59], v107 offset:1632
	;; [unrolled: 1-line block ×23, first 2 shown]
	global_load_dwordx4 v[210:213], v[105:106], off offset:592
	global_load_dwordx4 v[252:255], v[105:106], off offset:576
	;; [unrolled: 1-line block ×4, first 2 shown]
	s_waitcnt vmcnt(0) lgkmcnt(14)
	v_mul_f64 v[64:65], v[54:55], v[110:111]
	v_fma_f64 v[64:65], v[52:53], v[108:109], -v[64:65]
	v_mul_f64 v[52:53], v[52:53], v[110:111]
	v_fma_f64 v[66:67], v[54:55], v[108:109], v[52:53]
	v_mul_f64 v[52:53], v[58:59], v[237:238]
	v_fma_f64 v[72:73], v[56:57], v[235:236], -v[52:53]
	v_mul_f64 v[52:53], v[56:57], v[237:238]
	global_load_dwordx4 v[239:242], v[105:106], off offset:640
	global_load_dwordx4 v[243:246], v[105:106], off offset:624
	;; [unrolled: 1-line block ×3, first 2 shown]
	v_fma_f64 v[74:75], v[58:59], v[235:236], v[52:53]
	v_mul_f64 v[52:53], v[62:63], v[254:255]
	v_fma_f64 v[68:69], v[60:61], v[252:253], -v[52:53]
	v_mul_f64 v[52:53], v[60:61], v[254:255]
	v_fma_f64 v[70:71], v[62:63], v[252:253], v[52:53]
	v_mul_f64 v[52:53], v[78:79], v[212:213]
	v_fma_f64 v[80:81], v[76:77], v[210:211], -v[52:53]
	v_mul_f64 v[52:53], v[76:77], v[212:213]
	v_fma_f64 v[82:83], v[78:79], v[210:211], v[52:53]
	s_waitcnt vmcnt(0)
	v_mul_f64 v[52:53], v[86:87], v[56:57]
	v_fma_f64 v[92:93], v[84:85], v[54:55], -v[52:53]
	v_mul_f64 v[52:53], v[84:85], v[56:57]
	buffer_store_dword v54, off, s[60:63], 0 offset:552 ; 4-byte Folded Spill
	s_nop 0
	buffer_store_dword v55, off, s[60:63], 0 offset:556 ; 4-byte Folded Spill
	buffer_store_dword v56, off, s[60:63], 0 offset:560 ; 4-byte Folded Spill
	;; [unrolled: 1-line block ×3, first 2 shown]
	v_fma_f64 v[95:96], v[86:87], v[54:55], v[52:53]
	v_mul_f64 v[52:53], v[90:91], v[245:246]
	v_fma_f64 v[103:104], v[88:89], v[243:244], -v[52:53]
	v_mul_f64 v[52:53], v[88:89], v[245:246]
	v_fma_f64 v[101:102], v[90:91], v[243:244], v[52:53]
	global_load_dwordx4 v[84:87], v[105:106], off offset:2496
	global_load_dwordx4 v[76:79], v[105:106], off offset:2480
	;; [unrolled: 1-line block ×4, first 2 shown]
	v_mul_f64 v[52:53], v[118:119], v[241:242]
	v_fma_f64 v[97:98], v[116:117], v[239:240], -v[52:53]
	v_mul_f64 v[52:53], v[116:117], v[241:242]
	v_add_co_u32_e64 v116, s[0:1], s0, v105
	v_addc_co_u32_e64 v117, s[0:1], 0, v106, s[0:1]
	s_mov_b32 s0, 0x667f3bcd
	s_mov_b32 s1, 0xbfe6a09e
	;; [unrolled: 1-line block ×3, first 2 shown]
	v_fma_f64 v[99:100], v[118:119], v[239:240], v[52:53]
	s_waitcnt vmcnt(0)
	v_mul_f64 v[52:53], v[122:123], v[58:59]
	v_mul_f64 v[54:55], v[120:121], v[58:59]
	v_fma_f64 v[52:53], v[120:121], v[56:57], -v[52:53]
	buffer_store_dword v56, off, s[60:63], 0 offset:600 ; 4-byte Folded Spill
	s_nop 0
	buffer_store_dword v57, off, s[60:63], 0 offset:604 ; 4-byte Folded Spill
	buffer_store_dword v58, off, s[60:63], 0 offset:608 ; 4-byte Folded Spill
	;; [unrolled: 1-line block ×3, first 2 shown]
	s_waitcnt lgkmcnt(12)
	v_mul_f64 v[58:59], v[128:129], v[78:79]
	v_fma_f64 v[56:57], v[122:123], v[56:57], v[54:55]
	v_mul_f64 v[54:55], v[126:127], v[90:91]
	v_fma_f64 v[60:61], v[124:125], v[88:89], -v[54:55]
	v_mul_f64 v[54:55], v[124:125], v[90:91]
	buffer_store_dword v88, off, s[60:63], 0 offset:536 ; 4-byte Folded Spill
	s_nop 0
	buffer_store_dword v89, off, s[60:63], 0 offset:540 ; 4-byte Folded Spill
	buffer_store_dword v90, off, s[60:63], 0 offset:544 ; 4-byte Folded Spill
	;; [unrolled: 1-line block ×3, first 2 shown]
	v_fma_f64 v[62:63], v[126:127], v[88:89], v[54:55]
	v_mul_f64 v[54:55], v[130:131], v[78:79]
	v_fma_f64 v[54:55], v[128:129], v[76:77], -v[54:55]
	buffer_store_dword v76, off, s[60:63], 0 offset:520 ; 4-byte Folded Spill
	s_nop 0
	buffer_store_dword v77, off, s[60:63], 0 offset:524 ; 4-byte Folded Spill
	buffer_store_dword v78, off, s[60:63], 0 offset:528 ; 4-byte Folded Spill
	;; [unrolled: 1-line block ×3, first 2 shown]
	s_waitcnt lgkmcnt(11)
	v_mul_f64 v[78:79], v[132:133], v[86:87]
	v_fma_f64 v[58:59], v[130:131], v[76:77], v[58:59]
	v_mul_f64 v[76:77], v[134:135], v[86:87]
	v_fma_f64 v[76:77], v[132:133], v[84:85], -v[76:77]
	buffer_store_dword v84, off, s[60:63], 0 offset:504 ; 4-byte Folded Spill
	s_nop 0
	buffer_store_dword v85, off, s[60:63], 0 offset:508 ; 4-byte Folded Spill
	buffer_store_dword v86, off, s[60:63], 0 offset:512 ; 4-byte Folded Spill
	;; [unrolled: 1-line block ×3, first 2 shown]
	global_load_dwordx4 v[118:121], v[105:106], off offset:2544
	s_nop 0
	global_load_dwordx4 v[86:89], v[105:106], off offset:2528
	global_load_dwordx4 v[122:125], v[105:106], off offset:2512
	v_fma_f64 v[78:79], v[134:135], v[84:85], v[78:79]
	s_waitcnt vmcnt(0) lgkmcnt(10)
	v_mul_f64 v[84:85], v[50:51], v[124:125]
	v_fma_f64 v[84:85], v[48:49], v[122:123], -v[84:85]
	v_mul_f64 v[48:49], v[48:49], v[124:125]
	buffer_store_dword v122, off, s[60:63], 0 offset:696 ; 4-byte Folded Spill
	s_nop 0
	buffer_store_dword v123, off, s[60:63], 0 offset:700 ; 4-byte Folded Spill
	buffer_store_dword v124, off, s[60:63], 0 offset:704 ; 4-byte Folded Spill
	;; [unrolled: 1-line block ×3, first 2 shown]
	v_fma_f64 v[50:51], v[50:51], v[122:123], v[48:49]
	s_waitcnt lgkmcnt(9)
	v_mul_f64 v[48:49], v[46:47], v[88:89]
	v_add_f64 v[50:51], v[56:57], -v[50:51]
	v_fma_f64 v[90:91], v[44:45], v[86:87], -v[48:49]
	v_mul_f64 v[44:45], v[44:45], v[88:89]
	buffer_store_dword v86, off, s[60:63], 0 offset:584 ; 4-byte Folded Spill
	s_nop 0
	buffer_store_dword v87, off, s[60:63], 0 offset:588 ; 4-byte Folded Spill
	buffer_store_dword v88, off, s[60:63], 0 offset:592 ; 4-byte Folded Spill
	;; [unrolled: 1-line block ×3, first 2 shown]
	v_fma_f64 v[56:57], v[56:57], 2.0, -v[50:51]
	v_fma_f64 v[88:89], v[46:47], v[86:87], v[44:45]
	s_waitcnt lgkmcnt(8)
	v_mul_f64 v[44:45], v[42:43], v[120:121]
	v_fma_f64 v[48:49], v[40:41], v[118:119], -v[44:45]
	v_mul_f64 v[40:41], v[40:41], v[120:121]
	buffer_store_dword v118, off, s[60:63], 0 offset:568 ; 4-byte Folded Spill
	s_nop 0
	buffer_store_dword v119, off, s[60:63], 0 offset:572 ; 4-byte Folded Spill
	buffer_store_dword v120, off, s[60:63], 0 offset:576 ; 4-byte Folded Spill
	;; [unrolled: 1-line block ×3, first 2 shown]
	v_add_f64 v[48:49], v[54:55], -v[48:49]
	v_fma_f64 v[54:55], v[54:55], 2.0, -v[48:49]
	v_fma_f64 v[86:87], v[42:43], v[118:119], v[40:41]
	global_load_dwordx4 v[118:121], v[116:117], off offset:2496
	global_load_dwordx4 v[44:47], v[116:117], off offset:2480
	;; [unrolled: 1-line block ×4, first 2 shown]
	s_waitcnt vmcnt(0) lgkmcnt(6)
	v_mul_f64 v[40:41], v[38:39], v[128:129]
	v_fma_f64 v[40:41], v[36:37], v[126:127], -v[40:41]
	v_mul_f64 v[36:37], v[36:37], v[128:129]
	buffer_store_dword v126, off, s[60:63], 0 offset:712 ; 4-byte Folded Spill
	s_nop 0
	buffer_store_dword v127, off, s[60:63], 0 offset:716 ; 4-byte Folded Spill
	buffer_store_dword v128, off, s[60:63], 0 offset:720 ; 4-byte Folded Spill
	buffer_store_dword v129, off, s[60:63], 0 offset:724 ; 4-byte Folded Spill
	v_fma_f64 v[36:37], v[38:39], v[126:127], v[36:37]
	s_waitcnt lgkmcnt(5)
	v_mul_f64 v[38:39], v[34:35], v[124:125]
	v_fma_f64 v[38:39], v[32:33], v[122:123], -v[38:39]
	v_mul_f64 v[32:33], v[32:33], v[124:125]
	buffer_store_dword v122, off, s[60:63], 0 offset:680 ; 4-byte Folded Spill
	s_nop 0
	buffer_store_dword v123, off, s[60:63], 0 offset:684 ; 4-byte Folded Spill
	buffer_store_dword v124, off, s[60:63], 0 offset:688 ; 4-byte Folded Spill
	buffer_store_dword v125, off, s[60:63], 0 offset:692 ; 4-byte Folded Spill
	v_fma_f64 v[42:43], v[34:35], v[122:123], v[32:33]
	s_waitcnt lgkmcnt(4)
	;; [unrolled: 10-line block ×3, first 2 shown]
	v_mul_f64 v[28:29], v[26:27], v[120:121]
	v_add_f64 v[30:31], v[64:65], -v[92:93]
	v_fma_f64 v[44:45], v[24:25], v[118:119], -v[28:29]
	v_mul_f64 v[24:25], v[24:25], v[120:121]
	buffer_store_dword v118, off, s[60:63], 0 offset:632 ; 4-byte Folded Spill
	s_nop 0
	buffer_store_dword v119, off, s[60:63], 0 offset:636 ; 4-byte Folded Spill
	buffer_store_dword v120, off, s[60:63], 0 offset:640 ; 4-byte Folded Spill
	;; [unrolled: 1-line block ×3, first 2 shown]
	v_fma_f64 v[64:65], v[64:65], 2.0, -v[30:31]
	v_fma_f64 v[46:47], v[26:27], v[118:119], v[24:25]
	global_load_dwordx4 v[26:29], v[116:117], off offset:2544
	global_load_dwordx4 v[120:123], v[116:117], off offset:2528
	s_nop 0
	global_load_dwordx4 v[116:119], v[116:117], off offset:2512
	s_waitcnt vmcnt(0) lgkmcnt(2)
	v_mul_f64 v[24:25], v[22:23], v[118:119]
	v_fma_f64 v[105:106], v[20:21], v[116:117], -v[24:25]
	v_mul_f64 v[20:21], v[20:21], v[118:119]
	buffer_store_dword v116, off, s[60:63], 0 offset:728 ; 4-byte Folded Spill
	s_nop 0
	buffer_store_dword v117, off, s[60:63], 0 offset:732 ; 4-byte Folded Spill
	buffer_store_dword v118, off, s[60:63], 0 offset:736 ; 4-byte Folded Spill
	;; [unrolled: 1-line block ×3, first 2 shown]
	v_add_f64 v[24:25], v[74:75], -v[101:102]
	v_fma_f64 v[116:117], v[22:23], v[116:117], v[20:21]
	s_waitcnt lgkmcnt(1)
	v_mul_f64 v[20:21], v[18:19], v[122:123]
	v_add_f64 v[22:23], v[72:73], -v[103:104]
	v_fma_f64 v[118:119], v[16:17], v[120:121], -v[20:21]
	v_mul_f64 v[16:17], v[16:17], v[122:123]
	buffer_store_dword v120, off, s[60:63], 0 offset:648 ; 4-byte Folded Spill
	s_nop 0
	buffer_store_dword v121, off, s[60:63], 0 offset:652 ; 4-byte Folded Spill
	buffer_store_dword v122, off, s[60:63], 0 offset:656 ; 4-byte Folded Spill
	;; [unrolled: 1-line block ×3, first 2 shown]
	v_add_f64 v[20:21], v[10:11], -v[82:83]
	v_fma_f64 v[10:11], v[10:11], 2.0, -v[20:21]
	v_fma_f64 v[16:17], v[18:19], v[120:121], v[16:17]
	s_waitcnt lgkmcnt(0)
	v_mul_f64 v[18:19], v[14:15], v[28:29]
	v_fma_f64 v[18:19], v[12:13], v[26:27], -v[18:19]
	v_mul_f64 v[12:13], v[12:13], v[28:29]
	buffer_store_dword v26, off, s[60:63], 0 offset:616 ; 4-byte Folded Spill
	s_nop 0
	buffer_store_dword v27, off, s[60:63], 0 offset:620 ; 4-byte Folded Spill
	buffer_store_dword v28, off, s[60:63], 0 offset:624 ; 4-byte Folded Spill
	;; [unrolled: 1-line block ×3, first 2 shown]
	v_fma_f64 v[28:29], v[74:75], 2.0, -v[24:25]
	v_add_f64 v[74:75], v[68:69], -v[97:98]
	v_add_f64 v[97:98], v[20:21], v[22:23]
	v_add_f64 v[18:19], v[32:33], -v[18:19]
	v_add_f64 v[92:93], v[10:11], -v[28:29]
	v_fma_f64 v[68:69], v[68:69], 2.0, -v[74:75]
	v_fma_f64 v[28:29], v[20:21], 2.0, -v[97:98]
	v_fma_f64 v[32:33], v[32:33], 2.0, -v[18:19]
	v_fma_f64 v[10:11], v[10:11], 2.0, -v[92:93]
	v_fma_f64 v[12:13], v[14:15], v[26:27], v[12:13]
	v_add_f64 v[14:15], v[8:9], -v[80:81]
	v_fma_f64 v[26:27], v[72:73], 2.0, -v[22:23]
	v_add_f64 v[72:73], v[66:67], -v[95:96]
	v_add_f64 v[80:81], v[70:71], -v[99:100]
	v_add_f64 v[99:100], v[64:65], -v[68:69]
	v_add_f64 v[12:13], v[34:35], -v[12:13]
	v_fma_f64 v[8:9], v[8:9], 2.0, -v[14:15]
	v_add_f64 v[95:96], v[14:15], -v[24:25]
	v_fma_f64 v[66:67], v[66:67], 2.0, -v[72:73]
	v_fma_f64 v[70:71], v[70:71], 2.0, -v[80:81]
	v_add_f64 v[103:104], v[30:31], -v[80:81]
	v_add_f64 v[80:81], v[72:73], v[74:75]
	v_fma_f64 v[20:21], v[64:65], 2.0, -v[99:100]
	v_fma_f64 v[34:35], v[34:35], 2.0, -v[12:13]
	v_add_f64 v[82:83], v[8:9], -v[26:27]
	v_fma_f64 v[14:15], v[14:15], 2.0, -v[95:96]
	v_add_f64 v[101:102], v[66:67], -v[70:71]
	v_fma_f64 v[26:27], v[30:31], 2.0, -v[103:104]
	v_fma_f64 v[24:25], v[72:73], 2.0, -v[80:81]
	v_add_f64 v[30:31], v[92:93], v[99:100]
	v_fma_f64 v[8:9], v[8:9], 2.0, -v[82:83]
	v_fma_f64 v[22:23], v[66:67], 2.0, -v[101:102]
	;; [unrolled: 1-line block ×3, first 2 shown]
	v_add_f64 v[20:21], v[8:9], -v[20:21]
	v_add_f64 v[22:23], v[10:11], -v[22:23]
	v_fma_f64 v[64:65], v[8:9], 2.0, -v[20:21]
	v_fma_f64 v[8:9], v[26:27], s[0:1], v[14:15]
	v_fma_f64 v[66:67], v[10:11], 2.0, -v[22:23]
	v_fma_f64 v[10:11], v[24:25], s[0:1], v[28:29]
	v_fma_f64 v[24:25], v[24:25], s[0:1], v[8:9]
	;; [unrolled: 1-line block ×5, first 2 shown]
	v_fma_f64 v[68:69], v[14:15], 2.0, -v[24:25]
	v_fma_f64 v[80:81], v[80:81], s[0:1], v[8:9]
	v_add_f64 v[8:9], v[4:5], -v[76:77]
	v_fma_f64 v[70:71], v[28:29], 2.0, -v[26:27]
	v_add_f64 v[28:29], v[82:83], -v[101:102]
	v_add_f64 v[14:15], v[60:61], -v[90:91]
	;; [unrolled: 1-line block ×3, first 2 shown]
	v_add_f64 v[101:102], v[50:51], v[48:49]
	v_fma_f64 v[95:96], v[95:96], 2.0, -v[80:81]
	v_fma_f64 v[4:5], v[4:5], 2.0, -v[8:9]
	;; [unrolled: 1-line block ×3, first 2 shown]
	v_fma_f64 v[82:83], v[103:104], s[4:5], v[10:11]
	v_add_f64 v[10:11], v[6:7], -v[78:79]
	v_add_f64 v[78:79], v[52:53], -v[84:85]
	;; [unrolled: 1-line block ×3, first 2 shown]
	v_fma_f64 v[60:61], v[60:61], 2.0, -v[14:15]
	v_fma_f64 v[62:63], v[62:63], 2.0, -v[76:77]
	v_add_f64 v[92:93], v[8:9], -v[76:77]
	v_fma_f64 v[97:98], v[97:98], 2.0, -v[82:83]
	v_fma_f64 v[6:7], v[6:7], 2.0, -v[10:11]
	;; [unrolled: 1-line block ×4, first 2 shown]
	v_add_f64 v[86:87], v[4:5], -v[60:61]
	v_add_f64 v[14:15], v[10:11], v[14:15]
	v_add_f64 v[99:100], v[78:79], -v[84:85]
	v_fma_f64 v[8:9], v[8:9], 2.0, -v[92:93]
	v_add_f64 v[88:89], v[6:7], -v[62:63]
	v_add_f64 v[90:91], v[52:53], -v[54:55]
	;; [unrolled: 1-line block ×3, first 2 shown]
	v_fma_f64 v[4:5], v[4:5], 2.0, -v[86:87]
	v_fma_f64 v[10:11], v[10:11], 2.0, -v[14:15]
	;; [unrolled: 1-line block ×7, first 2 shown]
	v_add_f64 v[76:77], v[86:87], -v[76:77]
	v_add_f64 v[78:79], v[88:89], v[90:91]
	v_add_f64 v[48:49], v[4:5], -v[52:53]
	v_add_f64 v[50:51], v[6:7], -v[54:55]
	v_fma_f64 v[84:85], v[86:87], 2.0, -v[76:77]
	v_fma_f64 v[86:87], v[88:89], 2.0, -v[78:79]
	v_fma_f64 v[52:53], v[4:5], 2.0, -v[48:49]
	v_fma_f64 v[54:55], v[6:7], 2.0, -v[50:51]
	v_fma_f64 v[4:5], v[58:59], s[0:1], v[8:9]
	v_fma_f64 v[6:7], v[56:57], s[0:1], v[10:11]
	ds_write_b128 v107, v[64:67]
	ds_write_b128 v107, v[68:71] offset:816
	ds_write_b128 v107, v[72:75] offset:1632
	;; [unrolled: 1-line block ×8, first 2 shown]
	buffer_load_dword v20, off, s[60:63], 0 offset:472 ; 4-byte Folded Reload
	v_lshlrev_b32_e32 v22, 4, v158
	v_mov_b32_e32 v21, s7
	v_fma_f64 v[56:57], v[56:57], s[0:1], v[4:5]
	v_fma_f64 v[58:59], v[58:59], s[4:5], v[6:7]
	;; [unrolled: 1-line block ×4, first 2 shown]
	v_fma_f64 v[60:61], v[8:9], 2.0, -v[56:57]
	v_add_f64 v[8:9], v[38:39], -v[118:119]
	v_fma_f64 v[90:91], v[99:100], s[4:5], v[6:7]
	v_fma_f64 v[62:63], v[10:11], 2.0, -v[58:59]
	v_fma_f64 v[88:89], v[101:102], s[0:1], v[4:5]
	v_add_f64 v[4:5], v[0:1], -v[44:45]
	v_add_f64 v[10:11], v[42:43], -v[16:17]
	;; [unrolled: 1-line block ×3, first 2 shown]
	v_fma_f64 v[101:102], v[14:15], 2.0, -v[90:91]
	v_fma_f64 v[14:15], v[38:39], 2.0, -v[8:9]
	v_add_f64 v[38:39], v[40:41], -v[105:106]
	v_fma_f64 v[0:1], v[0:1], 2.0, -v[4:5]
	v_fma_f64 v[16:17], v[42:43], 2.0, -v[10:11]
	v_add_f64 v[42:43], v[36:37], -v[116:117]
	;; [unrolled: 3-line block ×3, first 2 shown]
	v_add_f64 v[46:47], v[6:7], v[8:9]
	v_fma_f64 v[40:41], v[40:41], 2.0, -v[38:39]
	v_add_f64 v[14:15], v[0:1], -v[14:15]
	v_add_f64 v[12:13], v[38:39], -v[12:13]
	v_fma_f64 v[36:37], v[36:37], 2.0, -v[42:43]
	v_add_f64 v[18:19], v[42:43], v[18:19]
	v_add_f64 v[16:17], v[2:3], -v[16:17]
	v_fma_f64 v[8:9], v[4:5], 2.0, -v[44:45]
	v_fma_f64 v[10:11], v[6:7], 2.0, -v[46:47]
	v_add_f64 v[92:93], v[40:41], -v[32:33]
	v_fma_f64 v[0:1], v[0:1], 2.0, -v[14:15]
	v_add_f64 v[103:104], v[36:37], -v[34:35]
	v_fma_f64 v[2:3], v[2:3], 2.0, -v[16:17]
	v_fma_f64 v[4:5], v[40:41], 2.0, -v[92:93]
	;; [unrolled: 1-line block ×5, first 2 shown]
	v_add_f64 v[4:5], v[0:1], -v[4:5]
	v_add_f64 v[6:7], v[2:3], -v[6:7]
	v_fma_f64 v[32:33], v[0:1], 2.0, -v[4:5]
	v_fma_f64 v[0:1], v[36:37], s[0:1], v[8:9]
	v_fma_f64 v[34:35], v[2:3], 2.0, -v[6:7]
	v_fma_f64 v[2:3], v[38:39], s[0:1], v[10:11]
	v_fma_f64 v[38:39], v[38:39], s[0:1], v[0:1]
	;; [unrolled: 1-line block ×4, first 2 shown]
	s_waitcnt vmcnt(0)
	v_lshl_add_u32 v28, v197, 4, v20
	v_fma_f64 v[248:249], v[8:9], 2.0, -v[38:39]
	v_add_f64 v[8:9], v[14:15], -v[103:104]
	v_fma_f64 v[250:251], v[10:11], 2.0, -v[40:41]
	v_add_f64 v[10:11], v[16:17], v[92:93]
	v_fma_f64 v[233:234], v[12:13], s[4:5], v[36:37]
	v_fma_f64 v[0:1], v[14:15], 2.0, -v[8:9]
	v_fma_f64 v[14:15], v[12:13], s[4:5], v[44:45]
	v_fma_f64 v[2:3], v[16:17], 2.0, -v[10:11]
	;; [unrolled: 2-line block ×3, first 2 shown]
	v_add_co_u32_e64 v20, s[0:1], s6, v22
	v_addc_co_u32_e64 v21, s[0:1], 0, v21, s[0:1]
	s_movk_i32 s0, 0x1000
	v_fma_f64 v[12:13], v[44:45], 2.0, -v[231:232]
	ds_write_b128 v28, v[60:63] offset:1088
	ds_write_b128 v28, v[84:87] offset:1904
	;; [unrolled: 1-line block ×11, first 2 shown]
	buffer_store_dword v4, off, s[60:63], 0 offset:472 ; 4-byte Folded Spill
	s_nop 0
	buffer_store_dword v5, off, s[60:63], 0 offset:476 ; 4-byte Folded Spill
	buffer_store_dword v6, off, s[60:63], 0 offset:480 ; 4-byte Folded Spill
	;; [unrolled: 1-line block ×3, first 2 shown]
	ds_write_b128 v28, v[4:7] offset:3808
	ds_write_b128 v28, v[38:41] offset:4624
	ds_write_b128 v28, v[8:11] offset:5440
	ds_write_b128 v28, v[231:234] offset:6256
	s_waitcnt lgkmcnt(0)
	; wave barrier
	s_waitcnt lgkmcnt(0)
	global_load_dwordx4 v[29:32], v22, s[6:7]
	ds_read_b128 v[23:26], v107
	v_mov_b32_e32 v4, v38
	v_mov_b32_e32 v5, v39
	;; [unrolled: 1-line block ×4, first 2 shown]
	s_waitcnt vmcnt(0) lgkmcnt(0)
	v_mul_f64 v[33:34], v[25:26], v[31:32]
	v_fma_f64 v[33:34], v[23:24], v[29:30], -v[33:34]
	v_mul_f64 v[23:24], v[23:24], v[31:32]
	v_fma_f64 v[35:36], v[25:26], v[29:30], v[23:24]
	global_load_dwordx4 v[29:32], v22, s[6:7] offset:384
	ds_read_b128 v[23:26], v107 offset:384
	ds_write_b128 v107, v[33:36]
	s_waitcnt vmcnt(0) lgkmcnt(1)
	v_mul_f64 v[33:34], v[25:26], v[31:32]
	v_fma_f64 v[33:34], v[23:24], v[29:30], -v[33:34]
	v_mul_f64 v[23:24], v[23:24], v[31:32]
	v_fma_f64 v[35:36], v[25:26], v[29:30], v[23:24]
	global_load_dwordx4 v[29:32], v22, s[6:7] offset:768
	ds_read_b128 v[23:26], v107 offset:768
	ds_write_b128 v107, v[33:36] offset:384
	s_waitcnt vmcnt(0) lgkmcnt(1)
	v_mul_f64 v[33:34], v[25:26], v[31:32]
	v_fma_f64 v[33:34], v[23:24], v[29:30], -v[33:34]
	v_mul_f64 v[23:24], v[23:24], v[31:32]
	v_fma_f64 v[35:36], v[25:26], v[29:30], v[23:24]
	global_load_dwordx4 v[29:32], v22, s[6:7] offset:1152
	ds_read_b128 v[23:26], v107 offset:1152
	ds_write_b128 v107, v[33:36] offset:768
	;; [unrolled: 8-line block ×9, first 2 shown]
	s_waitcnt vmcnt(0) lgkmcnt(1)
	v_mul_f64 v[33:34], v[25:26], v[31:32]
	v_fma_f64 v[33:34], v[23:24], v[29:30], -v[33:34]
	v_mul_f64 v[22:23], v[23:24], v[31:32]
	v_fma_f64 v[35:36], v[25:26], v[29:30], v[22:23]
	v_add_co_u32_e64 v22, s[0:1], s0, v20
	v_addc_co_u32_e64 v23, s[0:1], 0, v21, s[0:1]
	global_load_dwordx4 v[29:32], v[22:23], off offset:128
	ds_read_b128 v[24:27], v107 offset:4224
	ds_write_b128 v107, v[33:36] offset:3840
	s_waitcnt vmcnt(0) lgkmcnt(1)
	v_mul_f64 v[33:34], v[26:27], v[31:32]
	v_fma_f64 v[33:34], v[24:25], v[29:30], -v[33:34]
	v_mul_f64 v[24:25], v[24:25], v[31:32]
	v_fma_f64 v[35:36], v[26:27], v[29:30], v[24:25]
	buffer_load_dword v29, off, s[60:63], 0 offset:456 ; 4-byte Folded Reload
	ds_read_b128 v[24:27], v107 offset:4608
	ds_write_b128 v107, v[33:36] offset:4224
	s_waitcnt vmcnt(0)
	global_load_dwordx4 v[29:32], v29, s[6:7]
	s_waitcnt vmcnt(0) lgkmcnt(1)
	v_mul_f64 v[33:34], v[26:27], v[31:32]
	v_fma_f64 v[33:34], v[24:25], v[29:30], -v[33:34]
	v_mul_f64 v[24:25], v[24:25], v[31:32]
	v_fma_f64 v[35:36], v[26:27], v[29:30], v[24:25]
	global_load_dwordx4 v[29:32], v[22:23], off offset:896
	ds_read_b128 v[24:27], v107 offset:4992
	ds_write_b128 v107, v[33:36] offset:4608
	s_waitcnt vmcnt(0) lgkmcnt(1)
	v_mul_f64 v[33:34], v[26:27], v[31:32]
	v_fma_f64 v[33:34], v[24:25], v[29:30], -v[33:34]
	v_mul_f64 v[24:25], v[24:25], v[31:32]
	v_fma_f64 v[35:36], v[26:27], v[29:30], v[24:25]
	global_load_dwordx4 v[29:32], v[22:23], off offset:1280
	ds_read_b128 v[24:27], v107 offset:5376
	ds_write_b128 v107, v[33:36] offset:4992
	;; [unrolled: 8-line block ×3, first 2 shown]
	s_waitcnt vmcnt(0) lgkmcnt(1)
	v_mul_f64 v[33:34], v[26:27], v[31:32]
	v_fma_f64 v[33:34], v[24:25], v[29:30], -v[33:34]
	v_mul_f64 v[24:25], v[24:25], v[31:32]
	v_fma_f64 v[35:36], v[26:27], v[29:30], v[24:25]
	buffer_load_dword v29, off, s[60:63], 0 offset:440 ; 4-byte Folded Reload
	ds_read_b128 v[24:27], v107 offset:6144
	ds_write_b128 v107, v[33:36] offset:5760
	s_waitcnt vmcnt(0)
	global_load_dwordx4 v[29:32], v29, s[6:7]
	s_waitcnt vmcnt(0) lgkmcnt(1)
	v_mul_f64 v[33:34], v[26:27], v[31:32]
	v_fma_f64 v[33:34], v[24:25], v[29:30], -v[33:34]
	v_mul_f64 v[24:25], v[24:25], v[31:32]
	v_fma_f64 v[35:36], v[26:27], v[29:30], v[24:25]
	ds_write_b128 v107, v[33:36] offset:6144
	s_and_saveexec_b64 s[0:1], vcc
	s_cbranch_execz .LBB0_9
; %bb.8:
	global_load_dwordx4 v[29:32], v[20:21], off offset:272
	ds_read_b128 v[24:27], v107 offset:272
	s_waitcnt vmcnt(0) lgkmcnt(0)
	v_mul_f64 v[33:34], v[26:27], v[31:32]
	v_fma_f64 v[33:34], v[24:25], v[29:30], -v[33:34]
	v_mul_f64 v[24:25], v[24:25], v[31:32]
	v_fma_f64 v[35:36], v[26:27], v[29:30], v[24:25]
	global_load_dwordx4 v[29:32], v[20:21], off offset:656
	ds_read_b128 v[24:27], v107 offset:656
	ds_write_b128 v107, v[33:36] offset:272
	s_waitcnt vmcnt(0) lgkmcnt(1)
	v_mul_f64 v[33:34], v[26:27], v[31:32]
	v_fma_f64 v[33:34], v[24:25], v[29:30], -v[33:34]
	v_mul_f64 v[24:25], v[24:25], v[31:32]
	v_fma_f64 v[35:36], v[26:27], v[29:30], v[24:25]
	global_load_dwordx4 v[29:32], v[20:21], off offset:1040
	ds_read_b128 v[24:27], v107 offset:1040
	ds_write_b128 v107, v[33:36] offset:656
	;; [unrolled: 8-line block ×16, first 2 shown]
	s_waitcnt vmcnt(0) lgkmcnt(1)
	v_mul_f64 v[29:30], v[26:27], v[22:23]
	v_mul_f64 v[22:23], v[24:25], v[22:23]
	v_fma_f64 v[29:30], v[24:25], v[20:21], -v[29:30]
	v_fma_f64 v[31:32], v[26:27], v[20:21], v[22:23]
	ds_write_b128 v107, v[29:32] offset:6416
.LBB0_9:
	s_or_b64 exec, exec, s[0:1]
	s_waitcnt lgkmcnt(0)
	; wave barrier
	s_waitcnt lgkmcnt(0)
	ds_read_b128 v[80:83], v107
	ds_read_b128 v[84:87], v107 offset:384
	ds_read_b128 v[72:75], v107 offset:768
	;; [unrolled: 1-line block ×16, first 2 shown]
	s_and_saveexec_b64 s[0:1], vcc
	s_cbranch_execz .LBB0_11
; %bb.10:
	buffer_load_dword v0, off, s[60:63], 0 offset:436 ; 4-byte Folded Reload
	s_waitcnt vmcnt(0)
	v_lshl_add_u32 v29, v158, 4, v0
	ds_read_b128 v[248:251], v107 offset:272
	ds_read_b128 v[0:3], v29 offset:656
	;; [unrolled: 1-line block ×4, first 2 shown]
	s_waitcnt lgkmcnt(0)
	buffer_store_dword v4, off, s[60:63], 0 offset:472 ; 4-byte Folded Spill
	s_nop 0
	buffer_store_dword v5, off, s[60:63], 0 offset:476 ; 4-byte Folded Spill
	buffer_store_dword v6, off, s[60:63], 0 offset:480 ; 4-byte Folded Spill
	;; [unrolled: 1-line block ×3, first 2 shown]
	ds_read_b128 v[4:7], v29 offset:1808
	ds_read_b128 v[8:11], v29 offset:2192
	;; [unrolled: 1-line block ×4, first 2 shown]
	s_waitcnt lgkmcnt(0)
	buffer_store_dword v95, off, s[60:63], 0 offset:100 ; 4-byte Folded Spill
	s_nop 0
	buffer_store_dword v96, off, s[60:63], 0 offset:104 ; 4-byte Folded Spill
	buffer_store_dword v97, off, s[60:63], 0 offset:108 ; 4-byte Folded Spill
	buffer_store_dword v98, off, s[60:63], 0 offset:112 ; 4-byte Folded Spill
	ds_read_b128 v[214:217], v29 offset:3344
	ds_read_b128 v[218:221], v29 offset:3728
	;; [unrolled: 1-line block ×3, first 2 shown]
	s_waitcnt lgkmcnt(0)
	buffer_store_dword v16, off, s[60:63], 0 offset:116 ; 4-byte Folded Spill
	s_nop 0
	buffer_store_dword v17, off, s[60:63], 0 offset:120 ; 4-byte Folded Spill
	buffer_store_dword v18, off, s[60:63], 0 offset:124 ; 4-byte Folded Spill
	buffer_store_dword v19, off, s[60:63], 0 offset:128 ; 4-byte Folded Spill
	ds_read_b128 v[95:98], v29 offset:4496
	s_waitcnt lgkmcnt(0)
	buffer_store_dword v95, off, s[60:63], 0 offset:84 ; 4-byte Folded Spill
	s_nop 0
	buffer_store_dword v96, off, s[60:63], 0 offset:88 ; 4-byte Folded Spill
	buffer_store_dword v97, off, s[60:63], 0 offset:92 ; 4-byte Folded Spill
	buffer_store_dword v98, off, s[60:63], 0 offset:96 ; 4-byte Folded Spill
	ds_read_b128 v[95:98], v29 offset:4880
	;; [unrolled: 7-line block ×6, first 2 shown]
	s_waitcnt lgkmcnt(0)
	buffer_store_dword v95, off, s[60:63], 0 offset:4 ; 4-byte Folded Spill
	s_nop 0
	buffer_store_dword v96, off, s[60:63], 0 offset:8 ; 4-byte Folded Spill
	buffer_store_dword v97, off, s[60:63], 0 offset:12 ; 4-byte Folded Spill
	;; [unrolled: 1-line block ×3, first 2 shown]
.LBB0_11:
	s_or_b64 exec, exec, s[0:1]
	s_waitcnt lgkmcnt(14)
	v_add_f64 v[30:31], v[82:83], v[86:87]
	v_add_u32_e32 v247, 0x110, v28
	v_add_u32_e32 v197, 0x220, v28
	v_add_f64 v[28:29], v[80:81], v[84:85]
	s_waitcnt lgkmcnt(0)
	v_add_f64 v[140:141], v[86:87], -v[90:91]
	s_mov_b32 s12, 0x2a9d6da3
	s_mov_b32 s13, 0xbfe58eea
	v_add_f64 v[134:135], v[84:85], v[88:89]
	v_add_f64 v[30:31], v[30:31], v[74:75]
	;; [unrolled: 1-line block ×3, first 2 shown]
	s_mov_b32 s6, 0x75d4884
	v_add_f64 v[28:29], v[28:29], v[72:73]
	v_mul_f64 v[95:96], v[140:141], s[12:13]
	s_mov_b32 s7, 0x3fe7a5f6
	v_add_f64 v[138:139], v[84:85], -v[88:89]
	s_mov_b32 s0, 0x5d8e7cdc
	v_add_f64 v[30:31], v[30:31], v[66:67]
	v_mul_f64 v[97:98], v[136:137], s[6:7]
	s_mov_b32 s16, 0x7c9e640b
	v_add_f64 v[28:29], v[28:29], v[64:65]
	s_mov_b32 s20, 0xeb564b22
	s_mov_b32 s24, 0x923c349f
	;; [unrolled: 1-line block ×4, first 2 shown]
	v_add_f64 v[30:31], v[30:31], v[58:59]
	s_mov_b32 s1, 0xbfd71e95
	s_mov_b32 s45, 0x3fe58eea
	v_add_f64 v[28:29], v[28:29], v[56:57]
	s_mov_b32 s44, s12
	s_mov_b32 s17, 0xbfeca52d
	;; [unrolled: 1-line block ×4, first 2 shown]
	v_add_f64 v[30:31], v[30:31], v[50:51]
	s_mov_b32 s41, 0xbfe0d888
	s_mov_b32 s47, 0xbfc7851a
	v_add_f64 v[28:29], v[28:29], v[48:49]
	v_mul_f64 v[86:87], v[140:141], s[0:1]
	v_fma_f64 v[99:100], v[138:139], s[44:45], v[97:98]
	v_mul_f64 v[122:123], v[140:141], s[20:21]
	v_mul_f64 v[128:129], v[140:141], s[24:25]
	v_add_f64 v[30:31], v[30:31], v[42:43]
	v_mul_f64 v[142:143], v[140:141], s[28:29]
	v_mul_f64 v[146:147], v[140:141], s[40:41]
	v_add_f64 v[28:29], v[28:29], v[40:41]
	s_mov_b32 s4, 0x370991
	s_mov_b32 s14, 0x2b2883cd
	s_mov_b32 s18, 0x3259b75e
	s_mov_b32 s22, 0xc61f0d01
	v_add_f64 v[30:31], v[30:31], v[34:35]
	s_mov_b32 s26, 0x6ed5f1bb
	s_mov_b32 s36, 0x910ea3b9
	v_add_f64 v[28:29], v[28:29], v[32:33]
	s_mov_b32 s38, 0x7faef3
	s_mov_b32 s5, 0x3fedd6d0
	;; [unrolled: 1-line block ×4, first 2 shown]
	v_add_f64 v[30:31], v[30:31], v[22:23]
	s_mov_b32 s23, 0xbfd183b1
	s_mov_b32 s27, 0xbfe348c8
	v_add_f64 v[28:29], v[28:29], v[20:21]
	s_mov_b32 s37, 0xbfeb34fa
	s_mov_b32 s39, 0xbfef7484
	v_fma_f64 v[84:85], v[134:135], s[4:5], v[86:87]
	v_fma_f64 v[86:87], v[134:135], s[4:5], -v[86:87]
	v_add_f64 v[30:31], v[30:31], v[26:27]
	v_add_f64 v[101:102], v[82:83], v[99:100]
	v_mul_f64 v[99:100], v[136:137], s[14:15]
	v_add_f64 v[28:29], v[28:29], v[24:25]
	v_fma_f64 v[118:119], v[134:135], s[18:19], v[122:123]
	v_mul_f64 v[124:125], v[136:137], s[18:19]
	v_fma_f64 v[122:123], v[134:135], s[18:19], -v[122:123]
	v_fma_f64 v[126:127], v[134:135], s[22:23], v[128:129]
	v_add_f64 v[30:31], v[30:31], v[38:39]
	v_mul_f64 v[130:131], v[136:137], s[22:23]
	v_fma_f64 v[128:129], v[134:135], s[22:23], -v[128:129]
	v_add_f64 v[28:29], v[28:29], v[36:37]
	v_fma_f64 v[148:149], v[134:135], s[36:37], v[146:147]
	v_mul_f64 v[150:151], v[136:137], s[36:37]
	v_fma_f64 v[146:147], v[134:135], s[36:37], -v[146:147]
	s_mov_b32 s31, 0x3fd71e95
	v_add_f64 v[30:31], v[30:31], v[46:47]
	s_mov_b32 s30, s0
	s_mov_b32 s35, 0x3feca52d
	v_add_f64 v[28:29], v[28:29], v[44:45]
	s_mov_b32 s34, s16
	s_mov_b32 s50, s20
	;; [unrolled: 1-line block ×4, first 2 shown]
	v_add_f64 v[30:31], v[30:31], v[54:55]
	s_mov_b32 s55, 0x3fe9895b
	s_mov_b32 s54, s28
	v_add_f64 v[28:29], v[28:29], v[52:53]
	s_mov_b32 s49, 0x3fe0d888
	s_mov_b32 s48, s40
	;; [unrolled: 1-line block ×4, first 2 shown]
	v_add_f64 v[30:31], v[30:31], v[62:63]
	v_add_f64 v[92:93], v[80:81], v[84:85]
	;; [unrolled: 1-line block ×5, first 2 shown]
	v_fma_f64 v[120:121], v[138:139], s[50:51], v[124:125]
	v_add_f64 v[122:123], v[80:81], v[122:123]
	v_fma_f64 v[124:125], v[138:139], s[20:21], v[124:125]
	v_add_f64 v[30:31], v[30:31], v[70:71]
	v_add_f64 v[132:133], v[80:81], v[126:127]
	v_fma_f64 v[126:127], v[138:139], s[42:43], v[130:131]
	v_add_f64 v[28:29], v[28:29], v[68:69]
	;; [unrolled: 3-line block ×3, first 2 shown]
	v_fma_f64 v[152:153], v[138:139], s[48:49], v[150:151]
	v_add_f64 v[30:31], v[30:31], v[78:79]
	v_add_f64 v[146:147], v[80:81], v[146:147]
	v_fma_f64 v[150:151], v[138:139], s[40:41], v[150:151]
	v_add_f64 v[28:29], v[28:29], v[76:77]
	v_add_f64 v[120:121], v[82:83], v[120:121]
	v_add_f64 v[124:125], v[82:83], v[124:125]
	v_add_f64 v[126:127], v[82:83], v[126:127]
	v_add_f64 v[130:131], v[82:83], v[130:131]
	v_add_f64 v[18:19], v[30:31], v[90:91]
	v_fma_f64 v[90:91], v[134:135], s[6:7], v[95:96]
	v_fma_f64 v[95:96], v[134:135], s[6:7], -v[95:96]
	v_add_f64 v[16:17], v[28:29], v[88:89]
	v_mul_f64 v[88:89], v[136:137], s[4:5]
	v_fma_f64 v[28:29], v[134:135], s[26:27], v[142:143]
	v_mul_f64 v[30:31], v[136:137], s[26:27]
	v_fma_f64 v[142:143], v[134:135], s[26:27], -v[142:143]
	v_mul_f64 v[136:137], v[136:137], s[38:39]
	v_add_f64 v[90:91], v[80:81], v[90:91]
	v_add_f64 v[103:104], v[80:81], v[95:96]
	v_fma_f64 v[95:96], v[138:139], s[12:13], v[97:98]
	v_mul_f64 v[97:98], v[140:141], s[16:17]
	v_mul_f64 v[140:141], v[140:141], s[46:47]
	v_fma_f64 v[84:85], v[138:139], s[30:31], v[88:89]
	v_fma_f64 v[88:89], v[138:139], s[0:1], v[88:89]
	v_add_f64 v[28:29], v[80:81], v[28:29]
	v_fma_f64 v[144:145], v[138:139], s[54:55], v[30:31]
	v_add_f64 v[142:143], v[80:81], v[142:143]
	v_add_f64 v[105:106], v[82:83], v[95:96]
	v_fma_f64 v[95:96], v[134:135], s[14:15], v[97:98]
	v_fma_f64 v[97:98], v[134:135], s[14:15], -v[97:98]
	v_fma_f64 v[154:155], v[134:135], s[38:39], v[140:141]
	v_fma_f64 v[134:135], v[134:135], s[38:39], -v[140:141]
	v_fma_f64 v[30:31], v[138:139], s[28:29], v[30:31]
	v_fma_f64 v[156:157], v[138:139], s[52:53], v[136:137]
	v_add_f64 v[84:85], v[82:83], v[84:85]
	v_add_f64 v[88:89], v[82:83], v[88:89]
	;; [unrolled: 1-line block ×3, first 2 shown]
	v_fma_f64 v[95:96], v[138:139], s[34:35], v[99:100]
	v_add_f64 v[97:98], v[80:81], v[97:98]
	v_fma_f64 v[99:100], v[138:139], s[16:17], v[99:100]
	v_add_f64 v[154:155], v[80:81], v[154:155]
	v_add_f64 v[80:81], v[80:81], v[134:135]
	v_fma_f64 v[134:135], v[138:139], s[46:47], v[136:137]
	v_add_f64 v[136:137], v[74:75], v[78:79]
	v_add_f64 v[74:75], v[74:75], -v[78:79]
	v_add_f64 v[95:96], v[82:83], v[95:96]
	v_add_f64 v[144:145], v[82:83], v[144:145]
	;; [unrolled: 1-line block ×9, first 2 shown]
	v_add_f64 v[72:73], v[72:73], -v[76:77]
	v_mul_f64 v[76:77], v[74:75], s[12:13]
	s_waitcnt lgkmcnt(0)
	; wave barrier
	v_fma_f64 v[78:79], v[134:135], s[6:7], v[76:77]
	v_fma_f64 v[76:77], v[134:135], s[6:7], -v[76:77]
	v_add_f64 v[78:79], v[78:79], v[92:93]
	v_mul_f64 v[92:93], v[136:137], s[6:7]
	v_add_f64 v[76:77], v[76:77], v[86:87]
	v_fma_f64 v[86:87], v[72:73], s[12:13], v[92:93]
	v_fma_f64 v[138:139], v[72:73], s[44:45], v[92:93]
	v_add_f64 v[86:87], v[86:87], v[88:89]
	v_mul_f64 v[88:89], v[74:75], s[20:21]
	v_add_f64 v[84:85], v[138:139], v[84:85]
	v_fma_f64 v[92:93], v[134:135], s[18:19], v[88:89]
	v_fma_f64 v[88:89], v[134:135], s[18:19], -v[88:89]
	v_add_f64 v[90:91], v[92:93], v[90:91]
	v_mul_f64 v[92:93], v[136:137], s[18:19]
	v_add_f64 v[88:89], v[88:89], v[103:104]
	v_mul_f64 v[103:104], v[74:75], s[28:29]
	v_fma_f64 v[138:139], v[72:73], s[50:51], v[92:93]
	v_fma_f64 v[92:93], v[72:73], s[20:21], v[92:93]
	v_add_f64 v[101:102], v[138:139], v[101:102]
	v_add_f64 v[92:93], v[92:93], v[105:106]
	v_fma_f64 v[105:106], v[134:135], s[26:27], v[103:104]
	v_fma_f64 v[103:104], v[134:135], s[26:27], -v[103:104]
	v_add_f64 v[105:106], v[105:106], v[116:117]
	v_mul_f64 v[116:117], v[136:137], s[26:27]
	v_add_f64 v[97:98], v[103:104], v[97:98]
	v_fma_f64 v[103:104], v[72:73], s[28:29], v[116:117]
	v_fma_f64 v[138:139], v[72:73], s[54:55], v[116:117]
	v_add_f64 v[99:100], v[103:104], v[99:100]
	v_mul_f64 v[103:104], v[74:75], s[46:47]
	v_add_f64 v[95:96], v[138:139], v[95:96]
	v_fma_f64 v[116:117], v[134:135], s[38:39], v[103:104]
	v_fma_f64 v[103:104], v[134:135], s[38:39], -v[103:104]
	v_add_f64 v[116:117], v[116:117], v[118:119]
	v_mul_f64 v[118:119], v[136:137], s[38:39]
	v_add_f64 v[103:104], v[103:104], v[122:123]
	v_mul_f64 v[122:123], v[74:75], s[48:49]
	v_fma_f64 v[138:139], v[72:73], s[52:53], v[118:119]
	v_fma_f64 v[118:119], v[72:73], s[46:47], v[118:119]
	v_add_f64 v[120:121], v[138:139], v[120:121]
	v_add_f64 v[118:119], v[118:119], v[124:125]
	v_fma_f64 v[124:125], v[134:135], s[36:37], v[122:123]
	v_fma_f64 v[122:123], v[134:135], s[36:37], -v[122:123]
	v_add_f64 v[124:125], v[124:125], v[132:133]
	v_mul_f64 v[132:133], v[136:137], s[36:37]
	v_add_f64 v[122:123], v[122:123], v[128:129]
	v_fma_f64 v[128:129], v[72:73], s[48:49], v[132:133]
	v_fma_f64 v[138:139], v[72:73], s[40:41], v[132:133]
	v_add_f64 v[128:129], v[128:129], v[130:131]
	v_mul_f64 v[130:131], v[74:75], s[42:43]
	v_add_f64 v[126:127], v[138:139], v[126:127]
	v_fma_f64 v[132:133], v[134:135], s[22:23], v[130:131]
	v_fma_f64 v[130:131], v[134:135], s[22:23], -v[130:131]
	v_add_f64 v[28:29], v[132:133], v[28:29]
	v_mul_f64 v[132:133], v[136:137], s[22:23]
	v_add_f64 v[130:131], v[130:131], v[142:143]
	v_mul_f64 v[142:143], v[136:137], s[14:15]
	v_mul_f64 v[136:137], v[136:137], s[4:5]
	v_fma_f64 v[138:139], v[72:73], s[24:25], v[132:133]
	v_fma_f64 v[132:133], v[72:73], s[42:43], v[132:133]
	v_add_f64 v[138:139], v[138:139], v[144:145]
	v_add_f64 v[30:31], v[132:133], v[30:31]
	v_mul_f64 v[132:133], v[74:75], s[34:35]
	v_fma_f64 v[144:145], v[72:73], s[16:17], v[142:143]
	v_fma_f64 v[142:143], v[72:73], s[34:35], v[142:143]
	v_mul_f64 v[74:75], v[74:75], s[30:31]
	v_fma_f64 v[140:141], v[134:135], s[14:15], v[132:133]
	v_fma_f64 v[132:133], v[134:135], s[14:15], -v[132:133]
	v_add_f64 v[142:143], v[142:143], v[150:151]
	v_add_f64 v[144:145], v[144:145], v[152:153]
	;; [unrolled: 1-line block ×3, first 2 shown]
	v_fma_f64 v[148:149], v[72:73], s[0:1], v[136:137]
	v_fma_f64 v[72:73], v[72:73], s[30:31], v[136:137]
	v_add_f64 v[132:133], v[132:133], v[146:147]
	v_fma_f64 v[146:147], v[134:135], s[4:5], v[74:75]
	v_fma_f64 v[74:75], v[134:135], s[4:5], -v[74:75]
	v_add_f64 v[148:149], v[148:149], v[156:157]
	v_add_f64 v[72:73], v[72:73], v[82:83]
	;; [unrolled: 1-line block ×3, first 2 shown]
	v_add_f64 v[66:67], v[66:67], -v[70:71]
	v_add_f64 v[74:75], v[74:75], v[80:81]
	v_add_f64 v[80:81], v[64:65], v[68:69]
	v_add_f64 v[64:65], v[64:65], -v[68:69]
	v_add_f64 v[146:147], v[146:147], v[154:155]
	v_mul_f64 v[136:137], v[82:83], s[18:19]
	v_mul_f64 v[68:69], v[66:67], s[16:17]
	v_fma_f64 v[70:71], v[80:81], s[14:15], v[68:69]
	v_fma_f64 v[68:69], v[80:81], s[14:15], -v[68:69]
	v_add_f64 v[70:71], v[70:71], v[78:79]
	v_mul_f64 v[78:79], v[82:83], s[14:15]
	v_add_f64 v[68:69], v[68:69], v[76:77]
	v_fma_f64 v[134:135], v[64:65], s[34:35], v[78:79]
	v_fma_f64 v[76:77], v[64:65], s[16:17], v[78:79]
	v_mul_f64 v[78:79], v[66:67], s[28:29]
	v_add_f64 v[84:85], v[134:135], v[84:85]
	v_add_f64 v[76:77], v[76:77], v[86:87]
	v_fma_f64 v[86:87], v[80:81], s[26:27], v[78:79]
	v_fma_f64 v[78:79], v[80:81], s[26:27], -v[78:79]
	v_add_f64 v[86:87], v[86:87], v[90:91]
	v_mul_f64 v[90:91], v[82:83], s[26:27]
	v_add_f64 v[78:79], v[78:79], v[88:89]
	v_fma_f64 v[134:135], v[64:65], s[54:55], v[90:91]
	v_fma_f64 v[88:89], v[64:65], s[28:29], v[90:91]
	v_mul_f64 v[90:91], v[66:67], s[52:53]
	v_add_f64 v[101:102], v[134:135], v[101:102]
	v_add_f64 v[88:89], v[88:89], v[92:93]
	v_fma_f64 v[92:93], v[80:81], s[38:39], v[90:91]
	v_fma_f64 v[90:91], v[80:81], s[38:39], -v[90:91]
	v_add_f64 v[92:93], v[92:93], v[105:106]
	v_mul_f64 v[105:106], v[82:83], s[38:39]
	v_add_f64 v[90:91], v[90:91], v[97:98]
	v_fma_f64 v[97:98], v[64:65], s[52:53], v[105:106]
	v_fma_f64 v[134:135], v[64:65], s[46:47], v[105:106]
	v_add_f64 v[97:98], v[97:98], v[99:100]
	v_mul_f64 v[99:100], v[66:67], s[42:43]
	v_add_f64 v[95:96], v[134:135], v[95:96]
	v_fma_f64 v[105:106], v[80:81], s[22:23], v[99:100]
	v_fma_f64 v[99:100], v[80:81], s[22:23], -v[99:100]
	v_add_f64 v[105:106], v[105:106], v[116:117]
	v_mul_f64 v[116:117], v[82:83], s[22:23]
	v_add_f64 v[99:100], v[99:100], v[103:104]
	v_fma_f64 v[134:135], v[64:65], s[24:25], v[116:117]
	v_fma_f64 v[103:104], v[64:65], s[42:43], v[116:117]
	v_mul_f64 v[116:117], v[66:67], s[44:45]
	v_add_f64 v[120:121], v[134:135], v[120:121]
	v_add_f64 v[103:104], v[103:104], v[118:119]
	v_fma_f64 v[118:119], v[80:81], s[6:7], v[116:117]
	v_fma_f64 v[116:117], v[80:81], s[6:7], -v[116:117]
	v_add_f64 v[118:119], v[118:119], v[124:125]
	v_mul_f64 v[124:125], v[82:83], s[6:7]
	v_add_f64 v[116:117], v[116:117], v[122:123]
	v_fma_f64 v[134:135], v[64:65], s[12:13], v[124:125]
	v_fma_f64 v[122:123], v[64:65], s[44:45], v[124:125]
	v_mul_f64 v[124:125], v[66:67], s[0:1]
	v_add_f64 v[126:127], v[134:135], v[126:127]
	v_add_f64 v[122:123], v[122:123], v[128:129]
	v_fma_f64 v[128:129], v[80:81], s[4:5], v[124:125]
	v_fma_f64 v[124:125], v[80:81], s[4:5], -v[124:125]
	v_add_f64 v[28:29], v[128:129], v[28:29]
	v_mul_f64 v[128:129], v[82:83], s[4:5]
	v_add_f64 v[124:125], v[124:125], v[130:131]
	v_mul_f64 v[82:83], v[82:83], s[36:37]
	v_fma_f64 v[134:135], v[64:65], s[30:31], v[128:129]
	v_fma_f64 v[128:129], v[64:65], s[0:1], v[128:129]
	v_add_f64 v[134:135], v[134:135], v[138:139]
	v_add_f64 v[30:31], v[128:129], v[30:31]
	v_mul_f64 v[128:129], v[66:67], s[20:21]
	v_mul_f64 v[66:67], v[66:67], s[40:41]
	v_fma_f64 v[138:139], v[64:65], s[50:51], v[136:137]
	v_fma_f64 v[130:131], v[80:81], s[18:19], v[128:129]
	v_fma_f64 v[128:129], v[80:81], s[18:19], -v[128:129]
	v_add_f64 v[138:139], v[138:139], v[144:145]
	v_add_f64 v[130:131], v[130:131], v[140:141]
	;; [unrolled: 1-line block ×3, first 2 shown]
	v_fma_f64 v[132:133], v[64:65], s[20:21], v[136:137]
	v_fma_f64 v[136:137], v[80:81], s[36:37], v[66:67]
	v_fma_f64 v[66:67], v[80:81], s[36:37], -v[66:67]
	v_fma_f64 v[140:141], v[64:65], s[48:49], v[82:83]
	v_fma_f64 v[64:65], v[64:65], s[40:41], v[82:83]
	v_add_f64 v[132:133], v[132:133], v[142:143]
	v_add_f64 v[136:137], v[136:137], v[146:147]
	;; [unrolled: 1-line block ×4, first 2 shown]
	v_add_f64 v[58:59], v[58:59], -v[62:63]
	v_add_f64 v[64:65], v[64:65], v[72:73]
	v_add_f64 v[72:73], v[56:57], v[60:61]
	v_add_f64 v[56:57], v[56:57], -v[60:61]
	v_add_f64 v[140:141], v[140:141], v[148:149]
	v_mul_f64 v[82:83], v[74:75], s[38:39]
	v_mul_f64 v[60:61], v[58:59], s[20:21]
	v_fma_f64 v[62:63], v[72:73], s[18:19], v[60:61]
	v_fma_f64 v[60:61], v[72:73], s[18:19], -v[60:61]
	v_add_f64 v[62:63], v[62:63], v[70:71]
	v_mul_f64 v[70:71], v[74:75], s[18:19]
	v_add_f64 v[60:61], v[60:61], v[68:69]
	v_fma_f64 v[80:81], v[56:57], s[50:51], v[70:71]
	v_fma_f64 v[68:69], v[56:57], s[20:21], v[70:71]
	v_mul_f64 v[70:71], v[58:59], s[46:47]
	v_add_f64 v[80:81], v[80:81], v[84:85]
	v_add_f64 v[68:69], v[68:69], v[76:77]
	v_fma_f64 v[76:77], v[72:73], s[38:39], v[70:71]
	v_fma_f64 v[70:71], v[72:73], s[38:39], -v[70:71]
	v_fma_f64 v[84:85], v[56:57], s[52:53], v[82:83]
	v_add_f64 v[76:77], v[76:77], v[86:87]
	v_add_f64 v[70:71], v[70:71], v[78:79]
	v_fma_f64 v[78:79], v[56:57], s[46:47], v[82:83]
	v_mul_f64 v[82:83], v[58:59], s[42:43]
	v_add_f64 v[84:85], v[84:85], v[101:102]
	v_add_f64 v[78:79], v[78:79], v[88:89]
	v_fma_f64 v[86:87], v[72:73], s[22:23], v[82:83]
	v_mul_f64 v[88:89], v[74:75], s[22:23]
	v_fma_f64 v[82:83], v[72:73], s[22:23], -v[82:83]
	v_add_f64 v[86:87], v[86:87], v[92:93]
	v_fma_f64 v[92:93], v[56:57], s[24:25], v[88:89]
	v_add_f64 v[82:83], v[82:83], v[90:91]
	v_fma_f64 v[88:89], v[56:57], s[42:43], v[88:89]
	v_mul_f64 v[90:91], v[58:59], s[30:31]
	v_add_f64 v[92:93], v[92:93], v[95:96]
	v_add_f64 v[88:89], v[88:89], v[97:98]
	v_fma_f64 v[95:96], v[72:73], s[4:5], v[90:91]
	v_mul_f64 v[97:98], v[74:75], s[4:5]
	v_fma_f64 v[90:91], v[72:73], s[4:5], -v[90:91]
	v_add_f64 v[95:96], v[95:96], v[105:106]
	v_fma_f64 v[101:102], v[56:57], s[0:1], v[97:98]
	v_add_f64 v[90:91], v[90:91], v[99:100]
	v_fma_f64 v[97:98], v[56:57], s[30:31], v[97:98]
	v_mul_f64 v[99:100], v[58:59], s[16:17]
	v_mul_f64 v[105:106], v[74:75], s[14:15]
	v_add_f64 v[101:102], v[101:102], v[120:121]
	v_add_f64 v[97:98], v[97:98], v[103:104]
	v_fma_f64 v[103:104], v[72:73], s[14:15], v[99:100]
	v_fma_f64 v[99:100], v[72:73], s[14:15], -v[99:100]
	v_add_f64 v[103:104], v[103:104], v[118:119]
	v_add_f64 v[99:100], v[99:100], v[116:117]
	v_mul_f64 v[116:117], v[58:59], s[40:41]
	v_fma_f64 v[118:119], v[56:57], s[34:35], v[105:106]
	v_fma_f64 v[105:106], v[56:57], s[16:17], v[105:106]
	;; [unrolled: 1-line block ×3, first 2 shown]
	v_fma_f64 v[116:117], v[72:73], s[36:37], -v[116:117]
	v_add_f64 v[105:106], v[105:106], v[122:123]
	v_add_f64 v[118:119], v[118:119], v[126:127]
	v_mul_f64 v[126:127], v[74:75], s[26:27]
	v_add_f64 v[28:29], v[120:121], v[28:29]
	v_mul_f64 v[120:121], v[74:75], s[36:37]
	;; [unrolled: 2-line block ×3, first 2 shown]
	v_fma_f64 v[122:123], v[56:57], s[48:49], v[120:121]
	v_fma_f64 v[120:121], v[56:57], s[40:41], v[120:121]
	v_add_f64 v[122:123], v[122:123], v[134:135]
	v_add_f64 v[30:31], v[120:121], v[30:31]
	v_mul_f64 v[120:121], v[58:59], s[54:55]
	v_mul_f64 v[58:59], v[58:59], s[44:45]
	v_fma_f64 v[124:125], v[72:73], s[26:27], v[120:121]
	v_fma_f64 v[120:121], v[72:73], s[26:27], -v[120:121]
	v_add_f64 v[124:125], v[124:125], v[130:131]
	v_fma_f64 v[130:131], v[56:57], s[28:29], v[126:127]
	v_add_f64 v[120:121], v[120:121], v[128:129]
	v_fma_f64 v[126:127], v[56:57], s[54:55], v[126:127]
	v_fma_f64 v[128:129], v[72:73], s[6:7], v[58:59]
	v_fma_f64 v[58:59], v[72:73], s[6:7], -v[58:59]
	v_add_f64 v[130:131], v[130:131], v[138:139]
	v_add_f64 v[126:127], v[126:127], v[132:133]
	v_fma_f64 v[132:133], v[56:57], s[12:13], v[74:75]
	v_add_f64 v[58:59], v[58:59], v[66:67]
	v_fma_f64 v[56:57], v[56:57], s[44:45], v[74:75]
	v_add_f64 v[66:67], v[50:51], v[54:55]
	v_add_f64 v[50:51], v[50:51], -v[54:55]
	v_add_f64 v[128:129], v[128:129], v[136:137]
	v_add_f64 v[132:133], v[132:133], v[140:141]
	;; [unrolled: 1-line block ×4, first 2 shown]
	v_add_f64 v[48:49], v[48:49], -v[52:53]
	v_mul_f64 v[52:53], v[50:51], s[24:25]
	v_mul_f64 v[74:75], v[66:67], s[36:37]
	v_fma_f64 v[54:55], v[64:65], s[22:23], v[52:53]
	v_fma_f64 v[52:53], v[64:65], s[22:23], -v[52:53]
	v_add_f64 v[54:55], v[54:55], v[62:63]
	v_mul_f64 v[62:63], v[66:67], s[22:23]
	v_add_f64 v[52:53], v[52:53], v[60:61]
	v_fma_f64 v[72:73], v[48:49], s[42:43], v[62:63]
	v_fma_f64 v[60:61], v[48:49], s[24:25], v[62:63]
	v_mul_f64 v[62:63], v[50:51], s[48:49]
	v_add_f64 v[72:73], v[72:73], v[80:81]
	v_add_f64 v[60:61], v[60:61], v[68:69]
	v_fma_f64 v[68:69], v[64:65], s[36:37], v[62:63]
	v_fma_f64 v[62:63], v[64:65], s[36:37], -v[62:63]
	v_mul_f64 v[80:81], v[66:67], s[6:7]
	v_add_f64 v[68:69], v[68:69], v[76:77]
	v_fma_f64 v[76:77], v[48:49], s[40:41], v[74:75]
	v_add_f64 v[62:63], v[62:63], v[70:71]
	v_fma_f64 v[70:71], v[48:49], s[48:49], v[74:75]
	v_mul_f64 v[74:75], v[50:51], s[44:45]
	v_add_f64 v[76:77], v[76:77], v[84:85]
	v_fma_f64 v[84:85], v[48:49], s[12:13], v[80:81]
	v_add_f64 v[70:71], v[70:71], v[78:79]
	v_fma_f64 v[78:79], v[64:65], s[6:7], v[74:75]
	v_fma_f64 v[74:75], v[64:65], s[6:7], -v[74:75]
	v_fma_f64 v[80:81], v[48:49], s[44:45], v[80:81]
	v_add_f64 v[84:85], v[84:85], v[92:93]
	v_add_f64 v[78:79], v[78:79], v[86:87]
	;; [unrolled: 1-line block ×3, first 2 shown]
	v_mul_f64 v[82:83], v[50:51], s[16:17]
	v_add_f64 v[80:81], v[80:81], v[88:89]
	v_mul_f64 v[88:89], v[66:67], s[14:15]
	v_fma_f64 v[86:87], v[64:65], s[14:15], v[82:83]
	v_fma_f64 v[82:83], v[64:65], s[14:15], -v[82:83]
	v_fma_f64 v[92:93], v[48:49], s[34:35], v[88:89]
	v_fma_f64 v[88:89], v[48:49], s[16:17], v[88:89]
	v_add_f64 v[86:87], v[86:87], v[95:96]
	v_add_f64 v[82:83], v[82:83], v[90:91]
	v_mul_f64 v[90:91], v[50:51], s[46:47]
	v_add_f64 v[88:89], v[88:89], v[97:98]
	v_mul_f64 v[97:98], v[66:67], s[38:39]
	v_add_f64 v[92:93], v[92:93], v[101:102]
	v_fma_f64 v[95:96], v[64:65], s[38:39], v[90:91]
	v_fma_f64 v[90:91], v[64:65], s[38:39], -v[90:91]
	v_fma_f64 v[101:102], v[48:49], s[52:53], v[97:98]
	v_fma_f64 v[97:98], v[48:49], s[46:47], v[97:98]
	v_add_f64 v[95:96], v[95:96], v[103:104]
	v_add_f64 v[90:91], v[90:91], v[99:100]
	v_mul_f64 v[99:100], v[50:51], s[50:51]
	v_add_f64 v[97:98], v[97:98], v[105:106]
	v_add_f64 v[101:102], v[101:102], v[118:119]
	v_mul_f64 v[118:119], v[66:67], s[4:5]
	v_fma_f64 v[103:104], v[64:65], s[18:19], v[99:100]
	v_fma_f64 v[99:100], v[64:65], s[18:19], -v[99:100]
	v_add_f64 v[28:29], v[103:104], v[28:29]
	v_mul_f64 v[103:104], v[66:67], s[18:19]
	v_add_f64 v[99:100], v[99:100], v[116:117]
	v_mul_f64 v[66:67], v[66:67], s[26:27]
	v_fma_f64 v[105:106], v[48:49], s[20:21], v[103:104]
	v_fma_f64 v[103:104], v[48:49], s[50:51], v[103:104]
	v_add_f64 v[105:106], v[105:106], v[122:123]
	v_add_f64 v[30:31], v[103:104], v[30:31]
	v_mul_f64 v[103:104], v[50:51], s[0:1]
	v_mul_f64 v[50:51], v[50:51], s[28:29]
	v_fma_f64 v[122:123], v[48:49], s[30:31], v[118:119]
	v_fma_f64 v[118:119], v[48:49], s[0:1], v[118:119]
	;; [unrolled: 1-line block ×3, first 2 shown]
	v_fma_f64 v[103:104], v[64:65], s[4:5], -v[103:104]
	v_add_f64 v[122:123], v[122:123], v[130:131]
	v_add_f64 v[118:119], v[118:119], v[126:127]
	;; [unrolled: 1-line block ×4, first 2 shown]
	v_fma_f64 v[120:121], v[64:65], s[26:27], v[50:51]
	v_fma_f64 v[50:51], v[64:65], s[26:27], -v[50:51]
	v_fma_f64 v[124:125], v[48:49], s[54:55], v[66:67]
	v_fma_f64 v[48:49], v[48:49], s[28:29], v[66:67]
	v_add_f64 v[120:121], v[120:121], v[128:129]
	v_add_f64 v[50:51], v[50:51], v[58:59]
	;; [unrolled: 1-line block ×3, first 2 shown]
	v_add_f64 v[42:43], v[42:43], -v[46:47]
	v_add_f64 v[48:49], v[48:49], v[56:57]
	v_add_f64 v[56:57], v[40:41], v[44:45]
	v_add_f64 v[40:41], v[40:41], -v[44:45]
	v_add_f64 v[124:125], v[124:125], v[132:133]
	v_mul_f64 v[66:67], v[58:59], s[22:23]
	v_mul_f64 v[44:45], v[42:43], s[28:29]
	v_fma_f64 v[46:47], v[56:57], s[26:27], v[44:45]
	v_fma_f64 v[44:45], v[56:57], s[26:27], -v[44:45]
	v_add_f64 v[46:47], v[46:47], v[54:55]
	v_mul_f64 v[54:55], v[58:59], s[26:27]
	v_add_f64 v[44:45], v[44:45], v[52:53]
	v_fma_f64 v[64:65], v[40:41], s[54:55], v[54:55]
	v_fma_f64 v[52:53], v[40:41], s[28:29], v[54:55]
	v_mul_f64 v[54:55], v[42:43], s[42:43]
	v_add_f64 v[64:65], v[64:65], v[72:73]
	v_add_f64 v[52:53], v[52:53], v[60:61]
	v_fma_f64 v[60:61], v[56:57], s[22:23], v[54:55]
	v_fma_f64 v[54:55], v[56:57], s[22:23], -v[54:55]
	v_mul_f64 v[72:73], v[58:59], s[4:5]
	v_add_f64 v[60:61], v[60:61], v[68:69]
	v_fma_f64 v[68:69], v[40:41], s[24:25], v[66:67]
	v_add_f64 v[54:55], v[54:55], v[62:63]
	v_fma_f64 v[62:63], v[40:41], s[42:43], v[66:67]
	v_mul_f64 v[66:67], v[42:43], s[0:1]
	v_add_f64 v[68:69], v[68:69], v[76:77]
	v_fma_f64 v[76:77], v[40:41], s[30:31], v[72:73]
	v_add_f64 v[62:63], v[62:63], v[70:71]
	v_fma_f64 v[70:71], v[56:57], s[4:5], v[66:67]
	v_fma_f64 v[66:67], v[56:57], s[4:5], -v[66:67]
	v_fma_f64 v[72:73], v[40:41], s[0:1], v[72:73]
	v_add_f64 v[76:77], v[76:77], v[84:85]
	v_add_f64 v[70:71], v[70:71], v[78:79]
	;; [unrolled: 1-line block ×3, first 2 shown]
	v_mul_f64 v[74:75], v[42:43], s[40:41]
	v_add_f64 v[72:73], v[72:73], v[80:81]
	v_mul_f64 v[80:81], v[58:59], s[36:37]
	v_fma_f64 v[78:79], v[56:57], s[36:37], v[74:75]
	v_fma_f64 v[74:75], v[56:57], s[36:37], -v[74:75]
	v_fma_f64 v[84:85], v[40:41], s[48:49], v[80:81]
	v_fma_f64 v[80:81], v[40:41], s[40:41], v[80:81]
	v_add_f64 v[78:79], v[78:79], v[86:87]
	v_add_f64 v[74:75], v[74:75], v[82:83]
	v_mul_f64 v[82:83], v[42:43], s[50:51]
	v_add_f64 v[80:81], v[80:81], v[88:89]
	v_mul_f64 v[88:89], v[58:59], s[18:19]
	v_add_f64 v[84:85], v[84:85], v[92:93]
	v_fma_f64 v[86:87], v[56:57], s[18:19], v[82:83]
	v_fma_f64 v[82:83], v[56:57], s[18:19], -v[82:83]
	v_fma_f64 v[92:93], v[40:41], s[20:21], v[88:89]
	v_fma_f64 v[88:89], v[40:41], s[50:51], v[88:89]
	v_add_f64 v[86:87], v[86:87], v[95:96]
	v_add_f64 v[82:83], v[82:83], v[90:91]
	v_mul_f64 v[90:91], v[42:43], s[12:13]
	v_add_f64 v[88:89], v[88:89], v[97:98]
	v_add_f64 v[92:93], v[92:93], v[101:102]
	v_mul_f64 v[101:102], v[58:59], s[38:39]
	v_fma_f64 v[95:96], v[56:57], s[6:7], v[90:91]
	v_fma_f64 v[90:91], v[56:57], s[6:7], -v[90:91]
	v_add_f64 v[28:29], v[95:96], v[28:29]
	v_mul_f64 v[95:96], v[58:59], s[6:7]
	v_add_f64 v[90:91], v[90:91], v[99:100]
	v_mul_f64 v[58:59], v[58:59], s[14:15]
	v_fma_f64 v[97:98], v[40:41], s[44:45], v[95:96]
	v_fma_f64 v[95:96], v[40:41], s[12:13], v[95:96]
	v_add_f64 v[97:98], v[97:98], v[105:106]
	v_add_f64 v[30:31], v[95:96], v[30:31]
	v_mul_f64 v[95:96], v[42:43], s[46:47]
	v_mul_f64 v[42:43], v[42:43], s[34:35]
	v_fma_f64 v[105:106], v[40:41], s[52:53], v[101:102]
	v_fma_f64 v[101:102], v[40:41], s[46:47], v[101:102]
	;; [unrolled: 1-line block ×3, first 2 shown]
	v_fma_f64 v[95:96], v[56:57], s[38:39], -v[95:96]
	v_add_f64 v[105:106], v[105:106], v[122:123]
	v_add_f64 v[101:102], v[101:102], v[118:119]
	v_add_f64 v[118:119], v[20:21], -v[24:25]
	v_add_f64 v[99:100], v[99:100], v[116:117]
	v_add_f64 v[95:96], v[95:96], v[103:104]
	v_fma_f64 v[103:104], v[56:57], s[14:15], v[42:43]
	v_fma_f64 v[42:43], v[56:57], s[14:15], -v[42:43]
	v_fma_f64 v[116:117], v[40:41], s[16:17], v[58:59]
	v_fma_f64 v[40:41], v[40:41], s[34:35], v[58:59]
	v_add_f64 v[103:104], v[103:104], v[120:121]
	v_add_f64 v[42:43], v[42:43], v[50:51]
	;; [unrolled: 1-line block ×3, first 2 shown]
	v_add_f64 v[34:35], v[34:35], -v[38:39]
	v_add_f64 v[40:41], v[40:41], v[48:49]
	v_add_f64 v[48:49], v[32:33], v[36:37]
	v_add_f64 v[32:33], v[32:33], -v[36:37]
	v_add_f64 v[120:121], v[22:23], -v[26:27]
	v_add_f64 v[116:117], v[116:117], v[124:125]
	v_mul_f64 v[58:59], v[50:51], s[14:15]
	v_mul_f64 v[36:37], v[34:35], s[40:41]
	v_fma_f64 v[38:39], v[48:49], s[36:37], v[36:37]
	v_fma_f64 v[36:37], v[48:49], s[36:37], -v[36:37]
	v_add_f64 v[38:39], v[38:39], v[46:47]
	v_mul_f64 v[46:47], v[50:51], s[36:37]
	v_add_f64 v[36:37], v[36:37], v[44:45]
	v_fma_f64 v[56:57], v[32:33], s[48:49], v[46:47]
	v_fma_f64 v[44:45], v[32:33], s[40:41], v[46:47]
	v_mul_f64 v[46:47], v[34:35], s[34:35]
	v_add_f64 v[56:57], v[56:57], v[64:65]
	v_add_f64 v[44:45], v[44:45], v[52:53]
	v_fma_f64 v[52:53], v[48:49], s[14:15], v[46:47]
	v_fma_f64 v[46:47], v[48:49], s[14:15], -v[46:47]
	v_mul_f64 v[64:65], v[50:51], s[18:19]
	v_add_f64 v[52:53], v[52:53], v[60:61]
	v_fma_f64 v[60:61], v[32:33], s[16:17], v[58:59]
	v_add_f64 v[46:47], v[46:47], v[54:55]
	v_fma_f64 v[54:55], v[32:33], s[34:35], v[58:59]
	v_mul_f64 v[58:59], v[34:35], s[20:21]
	v_add_f64 v[60:61], v[60:61], v[68:69]
	v_fma_f64 v[68:69], v[32:33], s[50:51], v[64:65]
	v_add_f64 v[54:55], v[54:55], v[62:63]
	v_fma_f64 v[62:63], v[48:49], s[18:19], v[58:59]
	v_fma_f64 v[58:59], v[48:49], s[18:19], -v[58:59]
	v_fma_f64 v[64:65], v[32:33], s[20:21], v[64:65]
	v_add_f64 v[68:69], v[68:69], v[76:77]
	v_add_f64 v[62:63], v[62:63], v[70:71]
	;; [unrolled: 1-line block ×3, first 2 shown]
	v_mul_f64 v[66:67], v[34:35], s[54:55]
	v_add_f64 v[64:65], v[64:65], v[72:73]
	v_mul_f64 v[72:73], v[50:51], s[26:27]
	v_fma_f64 v[70:71], v[48:49], s[26:27], v[66:67]
	v_fma_f64 v[66:67], v[48:49], s[26:27], -v[66:67]
	v_fma_f64 v[76:77], v[32:33], s[28:29], v[72:73]
	v_fma_f64 v[72:73], v[32:33], s[54:55], v[72:73]
	v_add_f64 v[70:71], v[70:71], v[78:79]
	v_add_f64 v[66:67], v[66:67], v[74:75]
	v_mul_f64 v[74:75], v[34:35], s[0:1]
	v_add_f64 v[72:73], v[72:73], v[80:81]
	v_mul_f64 v[80:81], v[50:51], s[4:5]
	v_add_f64 v[76:77], v[76:77], v[84:85]
	v_fma_f64 v[78:79], v[48:49], s[4:5], v[74:75]
	v_fma_f64 v[74:75], v[48:49], s[4:5], -v[74:75]
	v_fma_f64 v[84:85], v[32:33], s[30:31], v[80:81]
	v_fma_f64 v[80:81], v[32:33], s[0:1], v[80:81]
	v_add_f64 v[78:79], v[78:79], v[86:87]
	v_add_f64 v[74:75], v[74:75], v[82:83]
	v_mul_f64 v[82:83], v[34:35], s[46:47]
	v_add_f64 v[84:85], v[84:85], v[92:93]
	v_add_f64 v[80:81], v[80:81], v[88:89]
	v_mul_f64 v[92:93], v[50:51], s[6:7]
	v_fma_f64 v[86:87], v[48:49], s[38:39], v[82:83]
	v_fma_f64 v[82:83], v[48:49], s[38:39], -v[82:83]
	v_add_f64 v[28:29], v[86:87], v[28:29]
	v_mul_f64 v[86:87], v[50:51], s[38:39]
	v_add_f64 v[82:83], v[82:83], v[90:91]
	v_mul_f64 v[50:51], v[50:51], s[22:23]
	v_fma_f64 v[88:89], v[32:33], s[52:53], v[86:87]
	v_fma_f64 v[86:87], v[32:33], s[46:47], v[86:87]
	v_add_f64 v[88:89], v[88:89], v[97:98]
	v_fma_f64 v[97:98], v[32:33], s[12:13], v[92:93]
	v_add_f64 v[30:31], v[86:87], v[30:31]
	v_mul_f64 v[86:87], v[34:35], s[44:45]
	v_mul_f64 v[34:35], v[34:35], s[24:25]
	v_fma_f64 v[92:93], v[32:33], s[44:45], v[92:93]
	v_add_f64 v[97:98], v[97:98], v[105:106]
	v_add_f64 v[105:106], v[20:21], v[24:25]
	v_mul_f64 v[24:25], v[120:121], s[46:47]
	v_fma_f64 v[90:91], v[48:49], s[6:7], v[86:87]
	v_fma_f64 v[86:87], v[48:49], s[6:7], -v[86:87]
	v_add_f64 v[92:93], v[92:93], v[101:102]
	v_fma_f64 v[20:21], v[105:106], s[38:39], v[24:25]
	v_fma_f64 v[24:25], v[105:106], s[38:39], -v[24:25]
	v_add_f64 v[90:91], v[90:91], v[99:100]
	v_add_f64 v[86:87], v[86:87], v[95:96]
	v_fma_f64 v[95:96], v[48:49], s[22:23], v[34:35]
	v_fma_f64 v[99:100], v[32:33], s[42:43], v[50:51]
	v_fma_f64 v[32:33], v[32:33], s[24:25], v[50:51]
	v_fma_f64 v[34:35], v[48:49], s[22:23], -v[34:35]
	v_add_f64 v[20:21], v[20:21], v[38:39]
	v_add_f64 v[24:25], v[24:25], v[36:37]
	v_mul_f64 v[36:37], v[120:121], s[30:31]
	v_add_f64 v[95:96], v[95:96], v[103:104]
	v_add_f64 v[99:100], v[99:100], v[116:117]
	;; [unrolled: 1-line block ×5, first 2 shown]
	v_fma_f64 v[32:33], v[105:106], s[4:5], v[36:37]
	v_fma_f64 v[36:37], v[105:106], s[4:5], -v[36:37]
	v_mul_f64 v[38:39], v[116:117], s[4:5]
	v_mul_f64 v[26:27], v[116:117], s[38:39]
	v_add_f64 v[32:33], v[32:33], v[52:53]
	v_add_f64 v[36:37], v[36:37], v[46:47]
	v_mul_f64 v[46:47], v[116:117], s[36:37]
	v_mul_f64 v[52:53], v[120:121], s[44:45]
	v_fma_f64 v[34:35], v[118:119], s[0:1], v[38:39]
	v_fma_f64 v[38:39], v[118:119], s[30:31], v[38:39]
	;; [unrolled: 1-line block ×7, first 2 shown]
	v_fma_f64 v[52:53], v[105:106], s[6:7], -v[52:53]
	v_add_f64 v[38:39], v[38:39], v[54:55]
	v_mul_f64 v[54:55], v[116:117], s[6:7]
	v_add_f64 v[26:27], v[26:27], v[44:45]
	v_add_f64 v[34:35], v[34:35], v[60:61]
	;; [unrolled: 1-line block ×3, first 2 shown]
	v_mul_f64 v[68:69], v[120:121], s[34:35]
	v_add_f64 v[46:47], v[46:47], v[64:65]
	v_add_f64 v[52:53], v[52:53], v[66:67]
	;; [unrolled: 1-line block ×3, first 2 shown]
	v_fma_f64 v[50:51], v[118:119], s[12:13], v[54:55]
	v_fma_f64 v[54:55], v[118:119], s[44:45], v[54:55]
	v_mul_f64 v[44:45], v[120:121], s[40:41]
	v_mul_f64 v[60:61], v[120:121], s[28:29]
	v_fma_f64 v[64:65], v[105:106], s[14:15], v[68:69]
	v_add_f64 v[22:23], v[22:23], v[56:57]
	v_fma_f64 v[68:69], v[105:106], s[14:15], -v[68:69]
	v_add_f64 v[50:51], v[50:51], v[76:77]
	v_add_f64 v[54:55], v[54:55], v[72:73]
	v_fma_f64 v[40:41], v[105:106], s[36:37], v[44:45]
	v_fma_f64 v[56:57], v[105:106], s[26:27], v[60:61]
	v_add_f64 v[64:65], v[64:65], v[28:29]
	v_mul_f64 v[28:29], v[116:117], s[14:15]
	v_fma_f64 v[44:45], v[105:106], s[36:37], -v[44:45]
	v_fma_f64 v[60:61], v[105:106], s[26:27], -v[60:61]
	v_add_f64 v[68:69], v[68:69], v[82:83]
	v_add_f64 v[40:41], v[40:41], v[62:63]
	;; [unrolled: 1-line block ×3, first 2 shown]
	v_mul_f64 v[62:63], v[116:117], s[26:27]
	v_fma_f64 v[66:67], v[118:119], s[16:17], v[28:29]
	v_fma_f64 v[28:29], v[118:119], s[34:35], v[28:29]
	v_add_f64 v[44:45], v[44:45], v[58:59]
	v_add_f64 v[60:61], v[60:61], v[74:75]
	v_fma_f64 v[58:59], v[118:119], s[54:55], v[62:63]
	v_fma_f64 v[62:63], v[118:119], s[28:29], v[62:63]
	v_add_f64 v[70:71], v[28:29], v[30:31]
	v_mul_f64 v[28:29], v[120:121], s[24:25]
	v_add_f64 v[66:67], v[66:67], v[88:89]
	v_add_f64 v[58:59], v[58:59], v[84:85]
	;; [unrolled: 1-line block ×3, first 2 shown]
	v_fma_f64 v[30:31], v[105:106], s[22:23], v[28:29]
	v_fma_f64 v[28:29], v[105:106], s[22:23], -v[28:29]
	v_add_f64 v[72:73], v[30:31], v[90:91]
	v_mul_f64 v[30:31], v[116:117], s[22:23]
	v_add_f64 v[76:77], v[28:29], v[86:87]
	v_fma_f64 v[28:29], v[118:119], s[24:25], v[30:31]
	v_fma_f64 v[74:75], v[118:119], s[42:43], v[30:31]
	v_add_f64 v[78:79], v[28:29], v[92:93]
	v_mul_f64 v[28:29], v[120:121], s[50:51]
	v_add_f64 v[74:75], v[74:75], v[97:98]
	v_fma_f64 v[30:31], v[105:106], s[18:19], v[28:29]
	v_fma_f64 v[28:29], v[105:106], s[18:19], -v[28:29]
	v_add_f64 v[80:81], v[30:31], v[95:96]
	v_mul_f64 v[30:31], v[116:117], s[18:19]
	v_add_f64 v[84:85], v[28:29], v[101:102]
	v_fma_f64 v[82:83], v[118:119], s[20:21], v[30:31]
	v_fma_f64 v[28:29], v[118:119], s[50:51], v[30:31]
	v_add_f64 v[82:83], v[82:83], v[99:100]
	v_add_f64 v[86:87], v[28:29], v[103:104]
	ds_write_b128 v94, v[16:19]
	ds_write_b128 v94, v[20:23] offset:16
	ds_write_b128 v94, v[32:35] offset:32
	;; [unrolled: 1-line block ×16, first 2 shown]
	s_and_saveexec_b64 s[56:57], vcc
	s_cbranch_execz .LBB0_13
; %bb.12:
	buffer_store_dword v185, off, s[60:63], 0 offset:440 ; 4-byte Folded Spill
	s_nop 0
	buffer_store_dword v186, off, s[60:63], 0 offset:444 ; 4-byte Folded Spill
	buffer_store_dword v187, off, s[60:63], 0 offset:448 ; 4-byte Folded Spill
	;; [unrolled: 1-line block ×4, first 2 shown]
	s_nop 0
	buffer_store_dword v190, off, s[60:63], 0 offset:460 ; 4-byte Folded Spill
	buffer_store_dword v191, off, s[60:63], 0 offset:464 ; 4-byte Folded Spill
	;; [unrolled: 1-line block ×3, first 2 shown]
	buffer_load_dword v188, off, s[60:63], 0 offset:4 ; 4-byte Folded Reload
	s_nop 0
	buffer_load_dword v189, off, s[60:63], 0 offset:8 ; 4-byte Folded Reload
	buffer_load_dword v190, off, s[60:63], 0 offset:12 ; 4-byte Folded Reload
	;; [unrolled: 1-line block ×3, first 2 shown]
	s_nop 0
	buffer_store_dword v222, off, s[60:63], 0 offset:776 ; 4-byte Folded Spill
	s_nop 0
	buffer_store_dword v223, off, s[60:63], 0 offset:780 ; 4-byte Folded Spill
	buffer_store_dword v224, off, s[60:63], 0 offset:784 ; 4-byte Folded Spill
	;; [unrolled: 1-line block ×5, first 2 shown]
	s_nop 0
	buffer_store_dword v211, off, s[60:63], 0 offset:836 ; 4-byte Folded Spill
	buffer_store_dword v212, off, s[60:63], 0 offset:840 ; 4-byte Folded Spill
	buffer_store_dword v213, off, s[60:63], 0 offset:844 ; 4-byte Folded Spill
	buffer_store_dword v227, off, s[60:63], 0 offset:848 ; 4-byte Folded Spill
	s_nop 0
	buffer_store_dword v228, off, s[60:63], 0 offset:852 ; 4-byte Folded Spill
	buffer_store_dword v229, off, s[60:63], 0 offset:856 ; 4-byte Folded Spill
	;; [unrolled: 1-line block ×3, first 2 shown]
	v_mov_b32_e32 v227, v221
	v_add_f64 v[56:57], v[216:217], v[220:221]
	v_mov_b32_e32 v226, v220
	v_mov_b32_e32 v225, v219
	;; [unrolled: 1-line block ×4, first 2 shown]
	v_add_f64 v[74:75], v[214:215], -v[218:219]
	v_mov_b32_e32 v222, v216
	v_mov_b32_e32 v221, v215
	;; [unrolled: 1-line block ×3, first 2 shown]
	buffer_load_dword v216, off, s[60:63], 0 offset:116 ; 4-byte Folded Reload
	buffer_load_dword v217, off, s[60:63], 0 offset:120 ; 4-byte Folded Reload
	;; [unrolled: 1-line block ×8, first 2 shown]
	s_nop 0
	buffer_store_dword v206, off, s[60:63], 0 offset:760 ; 4-byte Folded Spill
	s_nop 0
	buffer_store_dword v207, off, s[60:63], 0 offset:764 ; 4-byte Folded Spill
	buffer_store_dword v208, off, s[60:63], 0 offset:768 ; 4-byte Folded Spill
	;; [unrolled: 1-line block ×3, first 2 shown]
	buffer_load_dword v208, off, s[60:63], 0 offset:84 ; 4-byte Folded Reload
	s_nop 0
	buffer_load_dword v209, off, s[60:63], 0 offset:88 ; 4-byte Folded Reload
	buffer_load_dword v210, off, s[60:63], 0 offset:92 ; 4-byte Folded Reload
	;; [unrolled: 1-line block ×3, first 2 shown]
	s_nop 0
	buffer_store_dword v193, off, s[60:63], 0 offset:792 ; 4-byte Folded Spill
	buffer_store_dword v194, off, s[60:63], 0 offset:800 ; 4-byte Folded Spill
	buffer_store_dword v195, off, s[60:63], 0 offset:808 ; 4-byte Folded Spill
	buffer_load_dword v192, off, s[60:63], 0 offset:20 ; 4-byte Folded Reload
	s_nop 0
	buffer_load_dword v193, off, s[60:63], 0 offset:24 ; 4-byte Folded Reload
	buffer_load_dword v194, off, s[60:63], 0 offset:28 ; 4-byte Folded Reload
	buffer_load_dword v195, off, s[60:63], 0 offset:32 ; 4-byte Folded Reload
	s_nop 0
	buffer_store_dword v202, off, s[60:63], 0 offset:744 ; 4-byte Folded Spill
	s_nop 0
	buffer_store_dword v203, off, s[60:63], 0 offset:748 ; 4-byte Folded Spill
	buffer_store_dword v204, off, s[60:63], 0 offset:752 ; 4-byte Folded Spill
	buffer_store_dword v205, off, s[60:63], 0 offset:756 ; 4-byte Folded Spill
	buffer_load_dword v204, off, s[60:63], 0 offset:68 ; 4-byte Folded Reload
	s_nop 0
	buffer_load_dword v205, off, s[60:63], 0 offset:72 ; 4-byte Folded Reload
	buffer_load_dword v206, off, s[60:63], 0 offset:76 ; 4-byte Folded Reload
	buffer_load_dword v207, off, s[60:63], 0 offset:80 ; 4-byte Folded Reload
	s_nop 0
	buffer_store_dword v198, off, s[60:63], 0 offset:488 ; 4-byte Folded Spill
	;; [unrolled: 11-line block ×3, first 2 shown]
	buffer_store_dword v197, off, s[60:63], 0 offset:880 ; 4-byte Folded Spill
	buffer_load_dword v196, off, s[60:63], 0 offset:36 ; 4-byte Folded Reload
	s_nop 0
	buffer_load_dword v197, off, s[60:63], 0 offset:40 ; 4-byte Folded Reload
	buffer_load_dword v198, off, s[60:63], 0 offset:44 ; 4-byte Folded Reload
	;; [unrolled: 1-line block ×3, first 2 shown]
	s_nop 0
	buffer_store_dword v112, off, s[60:63], 0 offset:864 ; 4-byte Folded Spill
	s_nop 0
	buffer_store_dword v113, off, s[60:63], 0 offset:868 ; 4-byte Folded Spill
	buffer_store_dword v114, off, s[60:63], 0 offset:872 ; 4-byte Folded Spill
	;; [unrolled: 1-line block ×3, first 2 shown]
	v_mov_b32_e32 v112, v231
	v_mov_b32_e32 v113, v232
	v_mov_b32_e32 v114, v233
	v_mov_b32_e32 v115, v234
	v_add_f64 v[82:83], v[222:223], -v[226:227]
	v_mul_f64 v[40:41], v[74:75], s[50:51]
	v_mov_b32_e32 v94, v159
	s_waitcnt vmcnt(62)
	v_add_f64 v[128:129], v[0:1], -v[188:189]
	v_add_f64 v[70:71], v[2:3], v[190:191]
	v_add_f64 v[92:93], v[2:3], -v[190:191]
	v_add_f64 v[101:102], v[0:1], v[188:189]
	v_add_f64 v[2:3], v[2:3], v[250:251]
	;; [unrolled: 1-line block ×3, first 2 shown]
	v_mul_f64 v[20:21], v[128:129], s[46:47]
	s_waitcnt vmcnt(43)
	v_add_f64 v[76:77], v[212:213], -v[216:217]
	s_waitcnt vmcnt(41)
	v_add_f64 v[58:59], v[214:215], v[218:219]
	s_waitcnt vmcnt(35)
	v_add_f64 v[78:79], v[231:232], -v[208:209]
	v_mov_b32_e32 v231, v11
	v_mov_b32_e32 v230, v10
	;; [unrolled: 1-line block ×3, first 2 shown]
	s_waitcnt vmcnt(20)
	v_add_f64 v[88:89], v[8:9], -v[204:205]
	s_waitcnt vmcnt(18)
	v_add_f64 v[62:63], v[206:207], v[10:11]
	v_mov_b32_e32 v228, v8
	v_mov_b32_e32 v11, v7
	s_waitcnt vmcnt(12)
	v_add_f64 v[97:98], v[4:5], -v[200:201]
	v_mov_b32_e32 v10, v6
	v_mov_b32_e32 v9, v5
	;; [unrolled: 1-line block ×3, first 2 shown]
	buffer_load_dword v4, off, s[60:63], 0 offset:472 ; 4-byte Folded Reload
	buffer_load_dword v5, off, s[60:63], 0 offset:476 ; 4-byte Folded Reload
	;; [unrolled: 1-line block ×4, first 2 shown]
	v_add_f64 v[126:127], v[12:13], -v[192:193]
	v_add_f64 v[68:69], v[194:195], v[14:15]
	v_fma_f64 v[24:25], v[70:71], s[38:39], v[20:21]
	s_waitcnt vmcnt(14)
	v_add_f64 v[64:65], v[10:11], v[202:203]
	v_mul_f64 v[30:31], v[97:98], s[44:45]
	v_add_f64 v[118:119], v[14:15], -v[194:195]
	v_mul_f64 v[34:35], v[88:89], s[28:29]
	v_add_f64 v[99:100], v[192:193], v[12:13]
	v_mul_f64 v[22:23], v[126:127], s[30:31]
	v_add_f64 v[105:106], v[10:11], -v[202:203]
	v_add_f64 v[24:25], v[24:25], v[250:251]
	v_fma_f64 v[20:21], v[70:71], s[38:39], -v[20:21]
	v_fma_f64 v[36:37], v[64:65], s[6:7], v[30:31]
	v_add_f64 v[90:91], v[230:231], -v[206:207]
	v_fma_f64 v[46:47], v[62:63], s[26:27], v[34:35]
	v_add_f64 v[80:81], v[8:9], v[200:201]
	v_fma_f64 v[28:29], v[68:69], s[4:5], v[22:23]
	v_mul_f64 v[52:53], v[105:106], s[44:45]
	v_fma_f64 v[22:23], v[68:69], s[4:5], -v[22:23]
	v_add_f64 v[20:21], v[20:21], v[250:251]
	v_add_f64 v[60:61], v[233:234], v[210:211]
	v_add_f64 v[86:87], v[114:115], -v[210:211]
	v_add_f64 v[72:73], v[204:205], v[228:229]
	v_mul_f64 v[44:45], v[78:79], s[34:35]
	v_add_f64 v[24:25], v[28:29], v[24:25]
	v_mul_f64 v[28:29], v[92:93], s[46:47]
	v_mul_f64 v[50:51], v[90:91], s[28:29]
	v_fma_f64 v[120:121], v[80:81], s[6:7], -v[52:53]
	v_add_f64 v[20:21], v[22:23], v[20:21]
	v_add_f64 v[84:85], v[214:215], -v[218:219]
	v_mul_f64 v[42:43], v[76:77], s[24:25]
	v_fma_f64 v[54:55], v[60:61], s[14:15], v[44:45]
	v_add_f64 v[124:125], v[112:113], v[208:209]
	v_fma_f64 v[38:39], v[101:102], s[38:39], -v[28:29]
	v_fma_f64 v[28:29], v[101:102], s[38:39], v[28:29]
	v_mul_f64 v[22:23], v[86:87], s[34:35]
	v_fma_f64 v[30:31], v[64:65], s[6:7], -v[30:31]
	v_add_f64 v[122:123], v[212:213], v[216:217]
	v_fma_f64 v[52:53], v[80:81], s[6:7], v[52:53]
	v_fma_f64 v[34:35], v[62:63], s[26:27], -v[34:35]
	v_mul_f64 v[134:135], v[97:98], s[54:55]
	v_add_f64 v[38:39], v[38:39], v[248:249]
	v_add_f64 v[28:29], v[28:29], v[248:249]
	v_mul_f64 v[144:145], v[105:106], s[54:55]
	v_add_f64 v[2:3], v[14:15], v[2:3]
	v_add_f64 v[0:1], v[12:13], v[0:1]
	v_mul_f64 v[14:15], v[97:98], s[20:21]
	s_waitcnt vmcnt(2)
	v_add_f64 v[103:104], v[4:5], -v[196:197]
	s_waitcnt vmcnt(0)
	v_add_f64 v[66:67], v[198:199], v[6:7]
	v_add_f64 v[116:117], v[6:7], -v[198:199]
	v_add_f64 v[95:96], v[196:197], v[4:5]
	v_add_f64 v[2:3], v[6:7], v[2:3]
	;; [unrolled: 1-line block ×3, first 2 shown]
	v_mul_f64 v[6:7], v[78:79], s[28:29]
	v_mul_f64 v[26:27], v[103:104], s[40:41]
	;; [unrolled: 1-line block ×5, first 2 shown]
	v_add_f64 v[2:3], v[10:11], v[2:3]
	v_add_f64 v[0:1], v[8:9], v[0:1]
	v_mul_f64 v[8:9], v[76:77], s[40:41]
	v_fma_f64 v[32:33], v[66:67], s[36:37], v[26:27]
	v_fma_f64 v[26:27], v[66:67], s[36:37], -v[26:27]
	v_fma_f64 v[142:143], v[66:67], s[18:19], v[130:131]
	v_fma_f64 v[130:131], v[66:67], s[18:19], -v[130:131]
	v_fma_f64 v[146:147], v[95:96], s[18:19], -v[138:139]
	;; [unrolled: 1-line block ×3, first 2 shown]
	v_add_f64 v[10:11], v[230:231], v[2:3]
	v_add_f64 v[0:1], v[228:229], v[0:1]
	;; [unrolled: 1-line block ×3, first 2 shown]
	v_mul_f64 v[32:33], v[118:119], s[30:31]
	v_add_f64 v[20:21], v[26:27], v[20:21]
	v_mul_f64 v[26:27], v[84:85], s[24:25]
	v_add_f64 v[10:11], v[114:115], v[10:11]
	v_add_f64 v[0:1], v[112:113], v[0:1]
	;; [unrolled: 1-line block ×3, first 2 shown]
	v_mul_f64 v[36:37], v[116:117], s[40:41]
	v_fma_f64 v[48:49], v[99:100], s[4:5], -v[32:33]
	v_fma_f64 v[32:33], v[99:100], s[4:5], v[32:33]
	v_add_f64 v[20:21], v[30:31], v[20:21]
	v_mul_f64 v[30:31], v[82:83], s[50:51]
	v_add_f64 v[10:11], v[214:215], v[10:11]
	v_add_f64 v[0:1], v[212:213], v[0:1]
	;; [unrolled: 1-line block ×3, first 2 shown]
	v_fma_f64 v[46:47], v[95:96], s[36:37], -v[36:37]
	v_add_f64 v[38:39], v[38:39], v[48:49]
	v_fma_f64 v[36:37], v[95:96], s[36:37], v[36:37]
	v_add_f64 v[28:29], v[28:29], v[32:33]
	v_fma_f64 v[48:49], v[58:59], s[22:23], v[42:43]
	;; [unrolled: 2-line block ×3, first 2 shown]
	v_add_f64 v[24:25], v[54:55], v[24:25]
	v_add_f64 v[10:11], v[222:223], v[10:11]
	v_add_f64 v[38:39], v[46:47], v[38:39]
	v_fma_f64 v[46:47], v[72:73], s[26:27], -v[50:51]
	v_add_f64 v[28:29], v[36:37], v[28:29]
	v_fma_f64 v[36:37], v[122:123], s[22:23], -v[26:27]
	v_add_f64 v[0:1], v[220:221], v[0:1]
	v_add_f64 v[24:25], v[48:49], v[24:25]
	v_fma_f64 v[48:49], v[124:125], s[14:15], v[22:23]
	v_add_f64 v[32:33], v[120:121], v[38:39]
	v_fma_f64 v[38:39], v[124:125], s[14:15], -v[22:23]
	v_add_f64 v[120:121], v[220:221], v[224:225]
	v_add_f64 v[28:29], v[52:53], v[28:29]
	v_mul_f64 v[52:53], v[118:119], s[34:35]
	v_add_f64 v[10:11], v[226:227], v[10:11]
	v_add_f64 v[18:19], v[34:35], v[24:25]
	v_mul_f64 v[34:35], v[128:129], s[40:41]
	v_add_f64 v[32:33], v[46:47], v[32:33]
	v_fma_f64 v[46:47], v[72:73], s[26:27], v[50:51]
	v_fma_f64 v[24:25], v[122:123], s[22:23], v[26:27]
	v_add_f64 v[0:1], v[224:225], v[0:1]
	v_fma_f64 v[140:141], v[99:100], s[14:15], -v[52:53]
	v_fma_f64 v[52:53], v[99:100], s[14:15], v[52:53]
	v_add_f64 v[10:11], v[218:219], v[10:11]
	v_add_f64 v[32:33], v[38:39], v[32:33]
	v_fma_f64 v[38:39], v[60:61], s[14:15], -v[44:45]
	v_fma_f64 v[44:45], v[120:121], s[18:19], -v[30:31]
	v_add_f64 v[28:29], v[46:47], v[28:29]
	v_add_f64 v[0:1], v[216:217], v[0:1]
	;; [unrolled: 1-line block ×4, first 2 shown]
	v_fma_f64 v[36:37], v[58:59], s[22:23], -v[42:43]
	v_mul_f64 v[42:43], v[126:127], s[34:35]
	v_add_f64 v[26:27], v[48:49], v[28:29]
	v_add_f64 v[38:39], v[38:39], v[20:21]
	v_mul_f64 v[48:49], v[88:89], s[0:1]
	v_fma_f64 v[28:29], v[56:57], s[18:19], -v[40:41]
	v_mul_f64 v[40:41], v[74:75], s[24:25]
	v_add_f64 v[16:17], v[44:45], v[32:33]
	v_fma_f64 v[44:45], v[70:71], s[36:37], v[34:35]
	v_fma_f64 v[132:133], v[68:69], s[14:15], v[42:43]
	v_add_f64 v[24:25], v[24:25], v[26:27]
	v_mul_f64 v[26:27], v[92:93], s[40:41]
	v_fma_f64 v[34:35], v[70:71], s[36:37], -v[34:35]
	v_fma_f64 v[42:43], v[68:69], s[14:15], -v[42:43]
	v_add_f64 v[32:33], v[36:37], v[38:39]
	v_fma_f64 v[38:39], v[120:121], s[18:19], v[30:31]
	v_add_f64 v[44:45], v[44:45], v[250:251]
	v_mul_f64 v[30:31], v[78:79], s[46:47]
	v_fma_f64 v[136:137], v[62:63], s[4:5], v[48:49]
	v_fma_f64 v[54:55], v[101:102], s[36:37], -v[26:27]
	v_fma_f64 v[26:27], v[101:102], s[36:37], v[26:27]
	v_add_f64 v[34:35], v[34:35], v[250:251]
	buffer_store_dword v16, off, s[60:63], 0 offset:888 ; 4-byte Folded Spill
	s_nop 0
	buffer_store_dword v17, off, s[60:63], 0 offset:892 ; 4-byte Folded Spill
	buffer_store_dword v18, off, s[60:63], 0 offset:896 ; 4-byte Folded Spill
	;; [unrolled: 1-line block ×3, first 2 shown]
	v_mul_f64 v[36:37], v[76:77], s[44:45]
	v_add_f64 v[44:45], v[132:133], v[44:45]
	v_fma_f64 v[132:133], v[64:65], s[26:27], v[134:135]
	v_fma_f64 v[50:51], v[60:61], s[38:39], v[30:31]
	v_add_f64 v[54:55], v[54:55], v[248:249]
	v_add_f64 v[26:27], v[26:27], v[248:249]
	;; [unrolled: 1-line block ×3, first 2 shown]
	v_fma_f64 v[134:135], v[64:65], s[26:27], -v[134:135]
	v_add_f64 v[18:19], v[28:29], v[32:33]
	v_add_f64 v[44:45], v[142:143], v[44:45]
	v_fma_f64 v[142:143], v[80:81], s[26:27], -v[144:145]
	v_fma_f64 v[46:47], v[58:59], s[6:7], v[36:37]
	v_add_f64 v[54:55], v[54:55], v[140:141]
	v_add_f64 v[26:27], v[26:27], v[52:53]
	v_mul_f64 v[140:141], v[90:91], s[0:1]
	v_add_f64 v[34:35], v[130:131], v[34:35]
	v_fma_f64 v[130:131], v[80:81], s[26:27], v[144:145]
	v_add_f64 v[42:43], v[132:133], v[44:45]
	v_fma_f64 v[44:45], v[95:96], s[18:19], v[138:139]
	v_mul_f64 v[52:53], v[86:87], s[46:47]
	v_add_f64 v[54:55], v[146:147], v[54:55]
	v_fma_f64 v[48:49], v[62:63], s[4:5], -v[48:49]
	v_fma_f64 v[132:133], v[72:73], s[4:5], -v[140:141]
	v_add_f64 v[34:35], v[134:135], v[34:35]
	v_add_f64 v[16:17], v[38:39], v[24:25]
	;; [unrolled: 1-line block ×4, first 2 shown]
	v_mul_f64 v[44:45], v[84:85], s[44:45]
	v_add_f64 v[54:55], v[142:143], v[54:55]
	v_fma_f64 v[136:137], v[124:125], s[38:39], -v[52:53]
	v_fma_f64 v[52:53], v[124:125], s[38:39], v[52:53]
	v_add_f64 v[34:35], v[48:49], v[34:35]
	v_fma_f64 v[48:49], v[56:57], s[22:23], v[40:41]
	v_add_f64 v[42:43], v[50:51], v[42:43]
	v_fma_f64 v[50:51], v[72:73], s[4:5], v[140:141]
	v_add_f64 v[26:27], v[130:131], v[26:27]
	v_add_f64 v[54:55], v[132:133], v[54:55]
	v_fma_f64 v[132:133], v[122:123], s[6:7], -v[44:45]
	v_fma_f64 v[32:33], v[122:123], s[6:7], v[44:45]
	v_mul_f64 v[130:131], v[82:83], s[24:25]
	v_fma_f64 v[38:39], v[56:57], s[22:23], -v[40:41]
	v_add_f64 v[42:43], v[46:47], v[42:43]
	v_mul_f64 v[142:143], v[118:119], s[42:43]
	v_add_f64 v[26:27], v[50:51], v[26:27]
	v_add_f64 v[54:55], v[136:137], v[54:55]
	v_mul_f64 v[136:137], v[103:104], s[0:1]
	buffer_store_dword v16, off, s[60:63], 0 offset:920 ; 4-byte Folded Spill
	s_nop 0
	buffer_store_dword v17, off, s[60:63], 0 offset:924 ; 4-byte Folded Spill
	buffer_store_dword v18, off, s[60:63], 0 offset:928 ; 4-byte Folded Spill
	;; [unrolled: 1-line block ×3, first 2 shown]
	v_fma_f64 v[46:47], v[120:121], s[22:23], -v[130:131]
	v_fma_f64 v[40:41], v[120:121], s[22:23], v[130:131]
	v_mul_f64 v[130:131], v[126:127], s[42:43]
	v_fma_f64 v[152:153], v[99:100], s[22:23], -v[142:143]
	v_add_f64 v[44:45], v[52:53], v[26:27]
	v_add_f64 v[50:51], v[132:133], v[54:55]
	v_mul_f64 v[54:55], v[92:93], s[28:29]
	v_fma_f64 v[148:149], v[66:67], s[4:5], v[136:137]
	v_fma_f64 v[142:143], v[99:100], s[22:23], v[142:143]
	v_fma_f64 v[30:31], v[60:61], s[38:39], -v[30:31]
	v_fma_f64 v[146:147], v[68:69], s[22:23], v[130:131]
	v_fma_f64 v[130:131], v[68:69], s[22:23], -v[130:131]
	v_add_f64 v[32:33], v[32:33], v[44:45]
	v_mul_f64 v[44:45], v[128:129], s[28:29]
	v_fma_f64 v[144:145], v[101:102], s[26:27], -v[54:55]
	v_fma_f64 v[54:55], v[101:102], s[26:27], v[54:55]
	v_add_f64 v[16:17], v[46:47], v[50:51]
	v_mul_f64 v[50:51], v[97:98], s[40:41]
	v_add_f64 v[18:19], v[48:49], v[42:43]
	v_mul_f64 v[48:49], v[88:89], s[50:51]
	v_fma_f64 v[136:137], v[66:67], s[4:5], -v[136:137]
	v_fma_f64 v[134:135], v[70:71], s[26:27], v[44:45]
	v_fma_f64 v[44:45], v[70:71], s[26:27], -v[44:45]
	v_add_f64 v[144:145], v[144:145], v[248:249]
	v_add_f64 v[54:55], v[54:55], v[248:249]
	v_fma_f64 v[140:141], v[64:65], s[36:37], v[50:51]
	v_fma_f64 v[36:37], v[58:59], s[6:7], -v[36:37]
	v_add_f64 v[34:35], v[30:31], v[34:35]
	v_mul_f64 v[42:43], v[78:79], s[12:13]
	v_add_f64 v[134:135], v[134:135], v[250:251]
	v_add_f64 v[44:45], v[44:45], v[250:251]
	;; [unrolled: 1-line block ×4, first 2 shown]
	v_fma_f64 v[138:139], v[62:63], s[18:19], v[48:49]
	v_mul_f64 v[142:143], v[90:91], s[50:51]
	v_fma_f64 v[50:51], v[64:65], s[36:37], -v[50:51]
	v_add_f64 v[34:35], v[36:37], v[34:35]
	v_add_f64 v[134:135], v[146:147], v[134:135]
	v_mul_f64 v[146:147], v[105:106], s[40:41]
	v_add_f64 v[44:45], v[130:131], v[44:45]
	v_add_f64 v[144:145], v[154:155], v[144:145]
	v_mul_f64 v[36:37], v[76:77], s[46:47]
	v_fma_f64 v[132:133], v[60:61], s[6:7], v[42:43]
	v_fma_f64 v[48:49], v[62:63], s[18:19], -v[48:49]
	v_mul_f64 v[46:47], v[74:75], s[34:35]
	v_add_f64 v[130:131], v[148:149], v[134:135]
	v_fma_f64 v[134:135], v[95:96], s[4:5], v[150:151]
	v_fma_f64 v[148:149], v[80:81], s[36:37], -v[146:147]
	v_add_f64 v[44:45], v[136:137], v[44:45]
	v_fma_f64 v[136:137], v[80:81], s[36:37], v[146:147]
	v_fma_f64 v[52:53], v[58:59], s[38:39], v[36:37]
	v_fma_f64 v[42:43], v[60:61], s[6:7], -v[42:43]
	buffer_store_dword v16, off, s[60:63], 0 offset:904 ; 4-byte Folded Spill
	s_nop 0
	buffer_store_dword v17, off, s[60:63], 0 offset:908 ; 4-byte Folded Spill
	buffer_store_dword v18, off, s[60:63], 0 offset:912 ; 4-byte Folded Spill
	;; [unrolled: 1-line block ×3, first 2 shown]
	v_add_f64 v[130:131], v[140:141], v[130:131]
	v_add_f64 v[54:55], v[134:135], v[54:55]
	v_mul_f64 v[134:135], v[86:87], s[12:13]
	v_fma_f64 v[140:141], v[72:73], s[18:19], -v[142:143]
	v_add_f64 v[144:145], v[148:149], v[144:145]
	v_add_f64 v[44:45], v[50:51], v[44:45]
	;; [unrolled: 1-line block ×5, first 2 shown]
	v_fma_f64 v[130:131], v[72:73], s[18:19], v[142:143]
	v_add_f64 v[54:55], v[136:137], v[54:55]
	v_mul_f64 v[136:137], v[84:85], s[46:47]
	v_fma_f64 v[138:139], v[124:125], s[6:7], -v[134:135]
	v_add_f64 v[140:141], v[140:141], v[144:145]
	v_add_f64 v[44:45], v[48:49], v[44:45]
	v_fma_f64 v[36:37], v[58:59], s[38:39], -v[36:37]
	v_add_f64 v[48:49], v[132:133], v[50:51]
	v_fma_f64 v[50:51], v[124:125], s[6:7], v[134:135]
	v_add_f64 v[54:55], v[130:131], v[54:55]
	v_mul_f64 v[130:131], v[82:83], s[34:35]
	v_fma_f64 v[132:133], v[122:123], s[38:39], -v[136:137]
	v_add_f64 v[134:135], v[138:139], v[140:141]
	v_add_f64 v[42:43], v[42:43], v[44:45]
	v_fma_f64 v[44:45], v[56:57], s[14:15], v[46:47]
	v_fma_f64 v[136:137], v[122:123], s[38:39], v[136:137]
	v_add_f64 v[48:49], v[52:53], v[48:49]
	v_add_f64 v[50:51], v[50:51], v[54:55]
	buffer_store_dword v16, off, s[60:63], 0 offset:936 ; 4-byte Folded Spill
	s_nop 0
	buffer_store_dword v17, off, s[60:63], 0 offset:940 ; 4-byte Folded Spill
	buffer_store_dword v18, off, s[60:63], 0 offset:944 ; 4-byte Folded Spill
	;; [unrolled: 1-line block ×3, first 2 shown]
	v_fma_f64 v[52:53], v[120:121], s[14:15], -v[130:131]
	v_add_f64 v[54:55], v[132:133], v[134:135]
	v_fma_f64 v[46:47], v[56:57], s[14:15], -v[46:47]
	v_add_f64 v[42:43], v[36:37], v[42:43]
	v_fma_f64 v[130:131], v[120:121], s[14:15], v[130:131]
	v_mul_f64 v[132:133], v[128:129], s[24:25]
	v_add_f64 v[50:51], v[136:137], v[50:51]
	v_add_f64 v[18:19], v[44:45], v[48:49]
	v_mul_f64 v[48:49], v[92:93], s[24:25]
	v_mul_f64 v[138:139], v[118:119], s[48:49]
	;; [unrolled: 1-line block ×3, first 2 shown]
	v_add_f64 v[42:43], v[46:47], v[42:43]
	v_mul_f64 v[46:47], v[126:127], s[48:49]
	v_mul_f64 v[144:145], v[97:98], s[16:17]
	v_add_f64 v[40:41], v[130:131], v[50:51]
	v_fma_f64 v[50:51], v[70:71], s[22:23], v[132:133]
	v_fma_f64 v[140:141], v[101:102], s[22:23], -v[48:49]
	v_mul_f64 v[130:131], v[103:104], s[44:45]
	v_fma_f64 v[132:133], v[70:71], s[22:23], -v[132:133]
	v_fma_f64 v[150:151], v[99:100], s[36:37], -v[138:139]
	v_fma_f64 v[136:137], v[68:69], s[36:37], v[46:47]
	v_fma_f64 v[46:47], v[68:69], s[36:37], -v[46:47]
	v_mul_f64 v[154:155], v[105:106], s[16:17]
	v_add_f64 v[50:51], v[50:51], v[250:251]
	v_add_f64 v[140:141], v[140:141], v[248:249]
	v_fma_f64 v[146:147], v[66:67], s[6:7], v[130:131]
	v_add_f64 v[132:133], v[132:133], v[250:251]
	v_fma_f64 v[156:157], v[95:96], s[6:7], -v[148:149]
	v_fma_f64 v[152:153], v[64:65], s[14:15], v[144:145]
	v_fma_f64 v[130:131], v[66:67], s[6:7], -v[130:131]
	v_fma_f64 v[48:49], v[101:102], s[22:23], v[48:49]
	v_add_f64 v[50:51], v[136:137], v[50:51]
	v_add_f64 v[140:141], v[140:141], v[150:151]
	v_mul_f64 v[136:137], v[88:89], s[46:47]
	v_add_f64 v[46:47], v[46:47], v[132:133]
	v_mul_f64 v[132:133], v[90:91], s[46:47]
	v_fma_f64 v[150:151], v[80:81], s[14:15], -v[154:155]
	v_add_f64 v[16:17], v[52:53], v[54:55]
	v_mul_f64 v[52:53], v[78:79], s[50:51]
	v_add_f64 v[50:51], v[146:147], v[50:51]
	v_add_f64 v[140:141], v[156:157], v[140:141]
	v_fma_f64 v[146:147], v[62:63], s[38:39], v[136:137]
	v_fma_f64 v[144:145], v[64:65], s[14:15], -v[144:145]
	v_fma_f64 v[138:139], v[99:100], s[36:37], v[138:139]
	v_add_f64 v[48:49], v[48:49], v[248:249]
	v_add_f64 v[46:47], v[130:131], v[46:47]
	v_mul_f64 v[130:131], v[86:87], s[50:51]
	v_add_f64 v[50:51], v[152:153], v[50:51]
	v_fma_f64 v[152:153], v[72:73], s[38:39], -v[132:133]
	v_add_f64 v[140:141], v[150:151], v[140:141]
	v_mul_f64 v[44:45], v[76:77], s[0:1]
	v_fma_f64 v[142:143], v[60:61], s[18:19], v[52:53]
	v_fma_f64 v[136:137], v[62:63], s[38:39], -v[136:137]
	v_add_f64 v[48:49], v[48:49], v[138:139]
	v_add_f64 v[46:47], v[144:145], v[46:47]
	;; [unrolled: 1-line block ×3, first 2 shown]
	v_fma_f64 v[146:147], v[95:96], s[6:7], v[148:149]
	v_mul_f64 v[138:139], v[84:85], s[0:1]
	v_fma_f64 v[144:145], v[124:125], s[18:19], -v[130:131]
	v_add_f64 v[140:141], v[152:153], v[140:141]
	v_fma_f64 v[134:135], v[58:59], s[4:5], v[44:45]
	v_fma_f64 v[52:53], v[60:61], s[18:19], -v[52:53]
	v_add_f64 v[46:47], v[136:137], v[46:47]
	v_add_f64 v[50:51], v[142:143], v[50:51]
	v_fma_f64 v[142:143], v[80:81], s[14:15], v[154:155]
	v_add_f64 v[48:49], v[146:147], v[48:49]
	v_mul_f64 v[136:137], v[82:83], s[28:29]
	v_fma_f64 v[146:147], v[122:123], s[4:5], -v[138:139]
	v_add_f64 v[140:141], v[144:145], v[140:141]
	v_mul_f64 v[54:55], v[74:75], s[28:29]
	v_fma_f64 v[44:45], v[58:59], s[4:5], -v[44:45]
	v_fma_f64 v[132:133], v[72:73], s[38:39], v[132:133]
	v_add_f64 v[46:47], v[52:53], v[46:47]
	v_add_f64 v[48:49], v[142:143], v[48:49]
	;; [unrolled: 1-line block ×3, first 2 shown]
	v_fma_f64 v[52:53], v[120:121], s[26:27], -v[136:137]
	v_add_f64 v[134:135], v[146:147], v[140:141]
	v_fma_f64 v[144:145], v[56:57], s[26:27], v[54:55]
	v_fma_f64 v[54:55], v[56:57], s[26:27], -v[54:55]
	v_mul_f64 v[140:141], v[128:129], s[20:21]
	v_fma_f64 v[130:131], v[124:125], s[18:19], v[130:131]
	v_add_f64 v[48:49], v[132:133], v[48:49]
	v_add_f64 v[132:133], v[44:45], v[46:47]
	v_mul_f64 v[142:143], v[126:127], s[46:47]
	v_add_f64 v[44:45], v[52:53], v[134:135]
	v_mul_f64 v[52:53], v[92:93], s[20:21]
	v_add_f64 v[46:47], v[144:145], v[50:51]
	v_fma_f64 v[134:135], v[70:71], s[18:19], v[140:141]
	v_fma_f64 v[138:139], v[122:123], s[4:5], v[138:139]
	v_add_f64 v[48:49], v[130:131], v[48:49]
	v_add_f64 v[50:51], v[54:55], v[132:133]
	v_mul_f64 v[132:133], v[118:119], s[46:47]
	v_mul_f64 v[54:55], v[103:104], s[42:43]
	v_fma_f64 v[144:145], v[101:102], s[18:19], -v[52:53]
	v_fma_f64 v[130:131], v[68:69], s[38:39], v[142:143]
	v_add_f64 v[134:135], v[134:135], v[250:251]
	v_mul_f64 v[148:149], v[116:117], s[42:43]
	v_add_f64 v[48:49], v[138:139], v[48:49]
	v_mul_f64 v[138:139], v[97:98], s[30:31]
	v_fma_f64 v[150:151], v[99:100], s[38:39], -v[132:133]
	v_fma_f64 v[146:147], v[66:67], s[22:23], v[54:55]
	v_add_f64 v[144:145], v[144:145], v[248:249]
	v_mul_f64 v[156:157], v[105:106], s[30:31]
	v_add_f64 v[130:131], v[130:131], v[134:135]
	v_fma_f64 v[158:159], v[95:96], s[22:23], -v[148:149]
	v_fma_f64 v[140:141], v[70:71], s[18:19], -v[140:141]
	v_mov_b32_e32 v33, v161
	v_mul_f64 v[152:153], v[88:89], s[16:17]
	v_fma_f64 v[154:155], v[64:65], s[4:5], v[138:139]
	v_add_f64 v[144:145], v[144:145], v[150:151]
	v_mov_b32_e32 v37, v160
	v_add_f64 v[130:131], v[146:147], v[130:131]
	v_mov_b32_e32 v34, v162
	v_mov_b32_e32 v35, v163
	v_mov_b32_e32 v36, v164
	v_mul_f64 v[160:161], v[90:91], s[16:17]
	v_fma_f64 v[162:163], v[80:81], s[4:5], -v[156:157]
	v_fma_f64 v[142:143], v[68:69], s[38:39], -v[142:143]
	v_add_f64 v[140:141], v[140:141], v[250:251]
	v_add_f64 v[144:145], v[158:159], v[144:145]
	v_mov_b32_e32 v25, v165
	v_mul_f64 v[146:147], v[78:79], s[40:41]
	v_fma_f64 v[150:151], v[62:63], s[14:15], v[152:153]
	v_add_f64 v[130:131], v[154:155], v[130:131]
	v_mov_b32_e32 v26, v166
	v_mov_b32_e32 v27, v167
	;; [unrolled: 1-line block ×3, first 2 shown]
	v_mul_f64 v[164:165], v[86:87], s[40:41]
	v_fma_f64 v[166:167], v[72:73], s[14:15], -v[160:161]
	v_fma_f64 v[54:55], v[66:67], s[22:23], -v[54:55]
	v_add_f64 v[140:141], v[142:143], v[140:141]
	v_add_f64 v[142:143], v[162:163], v[144:145]
	v_mul_f64 v[154:155], v[76:77], s[54:55]
	v_fma_f64 v[158:159], v[60:61], s[36:37], v[146:147]
	v_add_f64 v[130:131], v[150:151], v[130:131]
	v_mul_f64 v[150:151], v[84:85], s[54:55]
	v_fma_f64 v[162:163], v[124:125], s[36:37], -v[164:165]
	v_fma_f64 v[138:139], v[64:65], s[4:5], -v[138:139]
	v_fma_f64 v[52:53], v[101:102], s[18:19], v[52:53]
	v_add_f64 v[54:55], v[54:55], v[140:141]
	v_add_f64 v[140:141], v[166:167], v[142:143]
	v_mul_f64 v[134:135], v[74:75], s[44:45]
	v_fma_f64 v[144:145], v[58:59], s[26:27], v[154:155]
	v_add_f64 v[130:131], v[158:159], v[130:131]
	v_mul_f64 v[142:143], v[82:83], s[44:45]
	v_fma_f64 v[158:159], v[122:123], s[26:27], -v[150:151]
	v_fma_f64 v[132:133], v[99:100], s[38:39], v[132:133]
	v_add_f64 v[52:53], v[52:53], v[248:249]
	v_add_f64 v[54:55], v[138:139], v[54:55]
	;; [unrolled: 1-line block ×3, first 2 shown]
	v_fma_f64 v[136:137], v[120:121], s[26:27], v[136:137]
	v_fma_f64 v[152:153], v[62:63], s[14:15], -v[152:153]
	v_fma_f64 v[140:141], v[56:57], s[6:7], v[134:135]
	v_add_f64 v[130:131], v[144:145], v[130:131]
	v_fma_f64 v[144:145], v[120:121], s[6:7], -v[142:143]
	v_fma_f64 v[148:149], v[95:96], s[22:23], v[148:149]
	v_add_f64 v[52:53], v[52:53], v[132:133]
	v_add_f64 v[138:139], v[158:159], v[138:139]
	v_fma_f64 v[146:147], v[60:61], s[36:37], -v[146:147]
	v_add_f64 v[132:133], v[152:153], v[54:55]
	v_add_f64 v[48:49], v[136:137], v[48:49]
	;; [unrolled: 1-line block ×3, first 2 shown]
	v_fma_f64 v[136:137], v[80:81], s[4:5], v[156:157]
	v_mul_f64 v[140:141], v[128:129], s[16:17]
	v_add_f64 v[148:149], v[148:149], v[52:53]
	v_add_f64 v[52:53], v[144:145], v[138:139]
	v_mul_f64 v[138:139], v[92:93], s[16:17]
	v_fma_f64 v[130:131], v[58:59], s[26:27], -v[154:155]
	v_add_f64 v[132:133], v[146:147], v[132:133]
	v_fma_f64 v[144:145], v[72:73], s[14:15], v[160:161]
	v_mul_f64 v[146:147], v[126:127], s[28:29]
	v_fma_f64 v[152:153], v[70:71], s[14:15], v[140:141]
	v_add_f64 v[136:137], v[136:137], v[148:149]
	v_mul_f64 v[148:149], v[118:119], s[28:29]
	v_fma_f64 v[154:155], v[101:102], s[14:15], -v[138:139]
	v_mul_f64 v[156:157], v[103:104], s[52:53]
	v_add_f64 v[130:131], v[130:131], v[132:133]
	v_fma_f64 v[132:133], v[124:125], s[36:37], v[164:165]
	v_fma_f64 v[158:159], v[68:69], s[26:27], v[146:147]
	v_add_f64 v[152:153], v[152:153], v[250:251]
	v_add_f64 v[136:137], v[144:145], v[136:137]
	v_fma_f64 v[144:145], v[122:123], s[26:27], v[150:151]
	v_mul_f64 v[150:151], v[116:117], s[52:53]
	v_fma_f64 v[160:161], v[99:100], s[26:27], -v[148:149]
	v_add_f64 v[154:155], v[154:155], v[248:249]
	v_fma_f64 v[140:141], v[70:71], s[14:15], -v[140:141]
	v_mul_f64 v[162:163], v[97:98], s[42:43]
	v_fma_f64 v[164:165], v[66:67], s[38:39], v[156:157]
	v_add_f64 v[152:153], v[158:159], v[152:153]
	v_add_f64 v[132:133], v[132:133], v[136:137]
	v_mul_f64 v[158:159], v[105:106], s[42:43]
	v_fma_f64 v[136:137], v[95:96], s[38:39], -v[150:151]
	v_add_f64 v[154:155], v[154:155], v[160:161]
	v_fma_f64 v[146:147], v[68:69], s[26:27], -v[146:147]
	v_add_f64 v[140:141], v[140:141], v[250:251]
	v_mov_b32_e32 v20, v235
	v_mov_b32_e32 v21, v236
	;; [unrolled: 1-line block ×5, first 2 shown]
	v_mul_f64 v[160:161], v[88:89], s[44:45]
	v_fma_f64 v[166:167], v[64:65], s[22:23], v[162:163]
	v_add_f64 v[152:153], v[164:165], v[152:153]
	v_mul_f64 v[164:165], v[90:91], s[44:45]
	v_mov_b32_e32 v234, v171
	v_mov_b32_e32 v233, v170
	;; [unrolled: 1-line block ×3, first 2 shown]
	v_fma_f64 v[168:169], v[80:81], s[22:23], -v[158:159]
	v_add_f64 v[136:137], v[136:137], v[154:155]
	v_fma_f64 v[156:157], v[66:67], s[38:39], -v[156:157]
	v_add_f64 v[140:141], v[146:147], v[140:141]
	buffer_store_dword v16, off, s[60:63], 0 offset:952 ; 4-byte Folded Spill
	s_nop 0
	buffer_store_dword v17, off, s[60:63], 0 offset:956 ; 4-byte Folded Spill
	buffer_store_dword v18, off, s[60:63], 0 offset:960 ; 4-byte Folded Spill
	;; [unrolled: 1-line block ×3, first 2 shown]
	v_mov_b32_e32 v16, v239
	v_mov_b32_e32 v17, v240
	;; [unrolled: 1-line block ×5, first 2 shown]
	v_mul_f64 v[154:155], v[78:79], s[0:1]
	v_fma_f64 v[170:171], v[62:63], s[6:7], v[160:161]
	v_add_f64 v[152:153], v[166:167], v[152:153]
	v_mul_f64 v[166:167], v[86:87], s[0:1]
	v_mov_b32_e32 v238, v175
	v_mov_b32_e32 v237, v174
	;; [unrolled: 1-line block ×3, first 2 shown]
	v_fma_f64 v[172:173], v[72:73], s[6:7], -v[164:165]
	v_add_f64 v[136:137], v[168:169], v[136:137]
	v_fma_f64 v[162:163], v[64:65], s[22:23], -v[162:163]
	v_add_f64 v[140:141], v[156:157], v[140:141]
	v_mul_f64 v[146:147], v[76:77], s[20:21]
	v_fma_f64 v[168:169], v[60:61], s[4:5], v[154:155]
	v_add_f64 v[152:153], v[170:171], v[152:153]
	v_mul_f64 v[170:171], v[84:85], s[20:21]
	v_fma_f64 v[174:175], v[124:125], s[4:5], -v[166:167]
	v_add_f64 v[136:137], v[172:173], v[136:137]
	v_fma_f64 v[160:161], v[62:63], s[6:7], -v[160:161]
	v_add_f64 v[140:141], v[162:163], v[140:141]
	v_mov_b32_e32 v29, v252
	v_mov_b32_e32 v30, v253
	;; [unrolled: 1-line block ×13, first 2 shown]
	v_fma_f64 v[134:135], v[56:57], s[6:7], -v[134:135]
	v_mul_f64 v[156:157], v[74:75], s[40:41]
	v_fma_f64 v[172:173], v[58:59], s[18:19], v[146:147]
	v_add_f64 v[152:153], v[168:169], v[152:153]
	v_mul_f64 v[168:169], v[82:83], s[40:41]
	v_mov_b32_e32 v242, v179
	v_mov_b32_e32 v241, v178
	;; [unrolled: 1-line block ×3, first 2 shown]
	v_fma_f64 v[176:177], v[122:123], s[18:19], -v[170:171]
	v_add_f64 v[136:137], v[174:175], v[136:137]
	v_fma_f64 v[142:143], v[120:121], s[6:7], v[142:143]
	v_add_f64 v[144:145], v[144:145], v[132:133]
	v_fma_f64 v[154:155], v[60:61], s[4:5], -v[154:155]
	v_add_f64 v[140:141], v[160:161], v[140:141]
	v_fma_f64 v[138:139], v[101:102], s[14:15], v[138:139]
	v_fma_f64 v[162:163], v[56:57], s[36:37], v[156:157]
	v_add_f64 v[152:153], v[172:173], v[152:153]
	v_fma_f64 v[172:173], v[120:121], s[36:37], -v[168:169]
	v_add_f64 v[160:161], v[176:177], v[136:137]
	v_add_f64 v[132:133], v[134:135], v[130:131]
	;; [unrolled: 1-line block ×3, first 2 shown]
	v_fma_f64 v[142:143], v[58:59], s[18:19], -v[146:147]
	v_mul_f64 v[144:145], v[128:129], s[12:13]
	v_add_f64 v[140:141], v[154:155], v[140:141]
	v_fma_f64 v[146:147], v[99:100], s[26:27], v[148:149]
	v_mul_f64 v[148:149], v[92:93], s[12:13]
	v_add_f64 v[138:139], v[138:139], v[248:249]
	v_add_f64 v[136:137], v[162:163], v[152:153]
	v_add_f64 v[134:135], v[172:173], v[160:161]
	v_fma_f64 v[152:153], v[56:57], s[36:37], -v[156:157]
	v_mul_f64 v[154:155], v[126:127], s[20:21]
	v_fma_f64 v[156:157], v[70:71], s[6:7], v[144:145]
	v_add_f64 v[140:141], v[142:143], v[140:141]
	v_fma_f64 v[142:143], v[95:96], s[38:39], v[150:151]
	v_mul_f64 v[150:151], v[118:119], s[20:21]
	v_fma_f64 v[160:161], v[101:102], s[6:7], -v[148:149]
	v_add_f64 v[138:139], v[138:139], v[146:147]
	v_fma_f64 v[158:159], v[80:81], s[22:23], v[158:159]
	v_fma_f64 v[162:163], v[68:69], s[18:19], v[154:155]
	v_add_f64 v[156:157], v[156:157], v[250:251]
	v_mul_f64 v[172:173], v[116:117], s[28:29]
	v_fma_f64 v[144:145], v[70:71], s[6:7], -v[144:145]
	v_fma_f64 v[174:175], v[99:100], s[18:19], -v[150:151]
	v_add_f64 v[160:161], v[160:161], v[248:249]
	v_add_f64 v[138:139], v[142:143], v[138:139]
	v_mul_f64 v[146:147], v[103:104], s[28:29]
	v_fma_f64 v[154:155], v[68:69], s[18:19], -v[154:155]
	v_add_f64 v[156:157], v[162:163], v[156:157]
	v_fma_f64 v[162:163], v[72:73], s[6:7], v[164:165]
	v_mul_f64 v[164:165], v[105:106], s[46:47]
	v_fma_f64 v[178:179], v[95:96], s[26:27], -v[172:173]
	v_add_f64 v[160:161], v[160:161], v[174:175]
	v_add_f64 v[138:139], v[158:159], v[138:139]
	;; [unrolled: 1-line block ×3, first 2 shown]
	v_fma_f64 v[148:149], v[101:102], s[6:7], v[148:149]
	v_mov_b32_e32 v24, v247
	v_mov_b32_e32 v247, v184
	;; [unrolled: 1-line block ×5, first 2 shown]
	v_fma_f64 v[180:181], v[80:81], s[38:39], -v[164:165]
	v_add_f64 v[160:161], v[178:179], v[160:161]
	v_add_f64 v[138:139], v[162:163], v[138:139]
	v_mul_f64 v[162:163], v[78:79], s[42:43]
	v_mul_f64 v[128:129], v[128:129], s[0:1]
	;; [unrolled: 1-line block ×3, first 2 shown]
	v_fma_f64 v[176:177], v[66:67], s[26:27], v[146:147]
	v_fma_f64 v[146:147], v[66:67], s[26:27], -v[146:147]
	v_add_f64 v[144:145], v[154:155], v[144:145]
	v_fma_f64 v[150:151], v[99:100], s[18:19], v[150:151]
	v_add_f64 v[148:149], v[148:149], v[248:249]
	v_add_f64 v[160:161], v[180:181], v[160:161]
	v_fma_f64 v[180:181], v[60:61], s[22:23], v[162:163]
	v_fma_f64 v[154:155], v[60:61], s[22:23], -v[162:163]
	v_mul_f64 v[126:127], v[126:127], s[12:13]
	v_fma_f64 v[162:163], v[70:71], s[4:5], v[128:129]
	v_mul_f64 v[158:159], v[88:89], s[48:49]
	v_fma_f64 v[174:175], v[64:65], s[38:39], v[142:143]
	v_fma_f64 v[142:143], v[64:65], s[38:39], -v[142:143]
	v_add_f64 v[144:145], v[146:147], v[144:145]
	v_fma_f64 v[146:147], v[95:96], s[26:27], v[172:173]
	v_add_f64 v[148:149], v[148:149], v[150:151]
	v_add_f64 v[156:157], v[176:177], v[156:157]
	v_mul_f64 v[103:104], v[103:104], s[16:17]
	v_fma_f64 v[150:151], v[68:69], s[6:7], v[126:127]
	v_add_f64 v[162:163], v[162:163], v[250:251]
	v_fma_f64 v[166:167], v[124:125], s[4:5], v[166:167]
	v_mul_f64 v[176:177], v[90:91], s[48:49]
	v_fma_f64 v[178:179], v[62:63], s[36:37], v[158:159]
	v_fma_f64 v[158:159], v[62:63], s[36:37], -v[158:159]
	v_add_f64 v[142:143], v[142:143], v[144:145]
	v_fma_f64 v[144:145], v[80:81], s[38:39], v[164:165]
	v_add_f64 v[12:13], v[146:147], v[148:149]
	v_add_f64 v[156:157], v[174:175], v[156:157]
	v_fma_f64 v[97:98], v[66:67], s[14:15], v[103:104]
	v_add_f64 v[146:147], v[150:151], v[162:163]
	v_mul_f64 v[174:175], v[86:87], s[42:43]
	v_fma_f64 v[182:183], v[72:73], s[36:37], -v[176:177]
	v_add_f64 v[138:139], v[166:167], v[138:139]
	v_mul_f64 v[166:167], v[76:77], s[34:35]
	v_add_f64 v[142:143], v[158:159], v[142:143]
	v_fma_f64 v[148:149], v[72:73], s[36:37], v[176:177]
	v_add_f64 v[12:13], v[144:145], v[12:13]
	v_fma_f64 v[170:171], v[122:123], s[18:19], v[170:171]
	v_add_f64 v[156:157], v[178:179], v[156:157]
	v_mul_f64 v[88:89], v[88:89], s[24:25]
	v_fma_f64 v[144:145], v[64:65], s[18:19], v[14:15]
	v_add_f64 v[97:98], v[97:98], v[146:147]
	v_mul_f64 v[178:179], v[84:85], s[34:35]
	v_add_f64 v[160:161], v[182:183], v[160:161]
	v_fma_f64 v[182:183], v[58:59], s[14:15], v[166:167]
	v_fma_f64 v[166:167], v[58:59], s[14:15], -v[166:167]
	v_add_f64 v[142:143], v[154:155], v[142:143]
	v_fma_f64 v[146:147], v[124:125], s[22:23], v[174:175]
	v_add_f64 v[4:5], v[148:149], v[12:13]
	v_fma_f64 v[168:169], v[120:121], s[36:37], v[168:169]
	v_add_f64 v[138:139], v[170:171], v[138:139]
	v_add_f64 v[156:157], v[180:181], v[156:157]
	v_mul_f64 v[180:181], v[82:83], s[30:31]
	v_fma_f64 v[12:13], v[62:63], s[22:23], v[88:89]
	v_add_f64 v[78:79], v[144:145], v[97:98]
	v_mul_f64 v[170:171], v[74:75], s[30:31]
	v_add_f64 v[97:98], v[166:167], v[142:143]
	v_fma_f64 v[142:143], v[122:123], s[14:15], v[178:179]
	v_add_f64 v[4:5], v[146:147], v[4:5]
	v_fma_f64 v[184:185], v[124:125], s[22:23], -v[174:175]
	v_fma_f64 v[186:187], v[122:123], s[14:15], -v[178:179]
	v_add_f64 v[138:139], v[168:169], v[138:139]
	v_fma_f64 v[168:169], v[120:121], s[4:5], -v[180:181]
	v_mov_b32_e32 v173, v236
	v_add_f64 v[12:13], v[12:13], v[78:79]
	v_fma_f64 v[78:79], v[120:121], s[4:5], v[180:181]
	v_mov_b32_e32 v177, v240
	v_mov_b32_e32 v174, v237
	;; [unrolled: 1-line block ×8, first 2 shown]
	v_add_f64 v[140:141], v[152:153], v[140:141]
	v_fma_f64 v[152:153], v[56:57], s[4:5], v[170:171]
	v_fma_f64 v[170:171], v[56:57], s[4:5], -v[170:171]
	v_mov_b32_e32 v241, v18
	v_mov_b32_e32 v240, v17
	v_mov_b32_e32 v239, v16
	v_add_f64 v[16:17], v[142:143], v[4:5]
	v_mul_f64 v[4:5], v[74:75], s[46:47]
	v_mul_f64 v[74:75], v[82:83], s[46:47]
	;; [unrolled: 1-line block ×3, first 2 shown]
	v_fma_f64 v[70:71], v[70:71], s[4:5], -v[128:129]
	v_fma_f64 v[76:77], v[60:61], s[26:27], v[6:7]
	v_add_f64 v[2:3], v[170:171], v[97:98]
	v_mul_f64 v[92:93], v[118:119], s[12:13]
	v_fma_f64 v[68:69], v[68:69], s[6:7], -v[126:127]
	v_fma_f64 v[66:67], v[66:67], s[14:15], -v[103:104]
	v_mov_b32_e32 v159, v94
	v_fma_f64 v[97:98], v[101:102], s[4:5], v[82:83]
	v_fma_f64 v[82:83], v[101:102], s[4:5], -v[82:83]
	v_add_f64 v[70:71], v[70:71], v[250:251]
	v_add_f64 v[12:13], v[76:77], v[12:13]
	v_mul_f64 v[76:77], v[84:85], s[40:41]
	v_mul_f64 v[84:85], v[86:87], s[28:29]
	;; [unrolled: 1-line block ×5, first 2 shown]
	v_fma_f64 v[101:102], v[99:100], s[6:7], v[92:93]
	v_add_f64 v[97:98], v[97:98], v[248:249]
	v_fma_f64 v[92:93], v[99:100], s[6:7], -v[92:93]
	v_add_f64 v[82:83], v[82:83], v[248:249]
	v_add_f64 v[68:69], v[68:69], v[70:71]
	v_fma_f64 v[14:15], v[64:65], s[18:19], -v[14:15]
	v_add_f64 v[0:1], v[208:209], v[0:1]
	v_fma_f64 v[70:71], v[95:96], s[14:15], v[105:106]
	v_fma_f64 v[94:95], v[95:96], s[14:15], -v[105:106]
	v_add_f64 v[97:98], v[97:98], v[101:102]
	v_fma_f64 v[62:63], v[62:63], s[22:23], -v[88:89]
	v_add_f64 v[82:83], v[82:83], v[92:93]
	v_add_f64 v[64:65], v[66:67], v[68:69]
	v_fma_f64 v[66:67], v[80:81], s[18:19], v[90:91]
	v_add_f64 v[10:11], v[206:207], v[10:11]
	v_add_f64 v[0:1], v[204:205], v[0:1]
	v_fma_f64 v[6:7], v[60:61], s[26:27], -v[6:7]
	v_add_f64 v[68:69], v[70:71], v[97:98]
	v_fma_f64 v[70:71], v[80:81], s[18:19], -v[90:91]
	v_add_f64 v[80:81], v[94:95], v[82:83]
	v_add_f64 v[14:15], v[14:15], v[64:65]
	v_fma_f64 v[64:65], v[72:73], s[22:23], v[86:87]
	v_add_f64 v[10:11], v[202:203], v[10:11]
	v_add_f64 v[0:1], v[200:201], v[0:1]
	v_fma_f64 v[18:19], v[58:59], s[36:37], v[8:9]
	v_add_f64 v[66:67], v[66:67], v[68:69]
	v_fma_f64 v[68:69], v[72:73], s[22:23], -v[86:87]
	v_add_f64 v[70:71], v[70:71], v[80:81]
	v_add_f64 v[14:15], v[62:63], v[14:15]
	v_fma_f64 v[60:61], v[124:125], s[26:27], v[84:85]
	v_fma_f64 v[8:9], v[58:59], s[36:37], -v[8:9]
	v_add_f64 v[10:11], v[198:199], v[10:11]
	v_add_f64 v[0:1], v[196:197], v[0:1]
	;; [unrolled: 1-line block ×3, first 2 shown]
	v_fma_f64 v[64:65], v[124:125], s[26:27], -v[84:85]
	v_add_f64 v[66:67], v[68:69], v[70:71]
	v_add_f64 v[6:7], v[6:7], v[14:15]
	;; [unrolled: 1-line block ×4, first 2 shown]
	buffer_load_dword v158, off, s[60:63], 0 ; 4-byte Folded Reload
	v_add_f64 v[0:1], v[192:193], v[0:1]
	v_add_f64 v[58:59], v[60:61], v[62:63]
	buffer_load_dword v112, off, s[60:63], 0 offset:864 ; 4-byte Folded Reload
	buffer_load_dword v113, off, s[60:63], 0 offset:868 ; 4-byte Folded Reload
	;; [unrolled: 1-line block ×4, first 2 shown]
	v_add_f64 v[62:63], v[64:65], v[66:67]
	v_fma_f64 v[64:65], v[56:57], s[38:39], -v[4:5]
	v_add_f64 v[6:7], v[8:9], v[6:7]
	v_add_f64 v[8:9], v[194:195], v[10:11]
	v_fma_f64 v[56:57], v[56:57], s[38:39], v[4:5]
	v_add_f64 v[160:161], v[186:187], v[160:161]
	buffer_load_dword v227, off, s[60:63], 0 offset:848 ; 4-byte Folded Reload
	buffer_load_dword v228, off, s[60:63], 0 offset:852 ; 4-byte Folded Reload
	buffer_load_dword v229, off, s[60:63], 0 offset:856 ; 4-byte Folded Reload
	buffer_load_dword v230, off, s[60:63], 0 offset:860 ; 4-byte Folded Reload
	buffer_load_dword v226, off, s[60:63], 0 offset:816 ; 4-byte Folded Reload
	buffer_load_dword v222, off, s[60:63], 0 offset:776 ; 4-byte Folded Reload
	buffer_load_dword v223, off, s[60:63], 0 offset:780 ; 4-byte Folded Reload
	buffer_load_dword v224, off, s[60:63], 0 offset:784 ; 4-byte Folded Reload
	buffer_load_dword v225, off, s[60:63], 0 offset:788 ; 4-byte Folded Reload
	buffer_load_dword v206, off, s[60:63], 0 offset:760 ; 4-byte Folded Reload
	buffer_load_dword v207, off, s[60:63], 0 offset:764 ; 4-byte Folded Reload
	buffer_load_dword v208, off, s[60:63], 0 offset:768 ; 4-byte Folded Reload
	buffer_load_dword v209, off, s[60:63], 0 offset:772 ; 4-byte Folded Reload
	buffer_load_dword v202, off, s[60:63], 0 offset:744 ; 4-byte Folded Reload
	buffer_load_dword v203, off, s[60:63], 0 offset:748 ; 4-byte Folded Reload
	buffer_load_dword v204, off, s[60:63], 0 offset:752 ; 4-byte Folded Reload
	buffer_load_dword v205, off, s[60:63], 0 offset:756 ; 4-byte Folded Reload
	buffer_load_dword v198, off, s[60:63], 0 offset:488 ; 4-byte Folded Reload
	buffer_load_dword v199, off, s[60:63], 0 offset:492 ; 4-byte Folded Reload
	buffer_load_dword v200, off, s[60:63], 0 offset:496 ; 4-byte Folded Reload
	buffer_load_dword v201, off, s[60:63], 0 offset:500 ; 4-byte Folded Reload
	buffer_load_dword v197, off, s[60:63], 0 offset:880 ; 4-byte Folded Reload
	buffer_load_dword v196, off, s[60:63], 0 offset:824 ; 4-byte Folded Reload
	buffer_load_dword v195, off, s[60:63], 0 offset:808 ; 4-byte Folded Reload
	buffer_load_dword v194, off, s[60:63], 0 offset:800 ; 4-byte Folded Reload
	buffer_load_dword v193, off, s[60:63], 0 offset:792 ; 4-byte Folded Reload
	v_add_f64 v[10:11], v[190:191], v[8:9]
	v_add_f64 v[8:9], v[188:189], v[0:1]
	buffer_load_dword v189, off, s[60:63], 0 offset:456 ; 4-byte Folded Reload
	buffer_load_dword v190, off, s[60:63], 0 offset:460 ; 4-byte Folded Reload
	;; [unrolled: 1-line block ×12, first 2 shown]
	v_add_f64 v[18:19], v[56:57], v[18:19]
	buffer_load_dword v56, off, s[60:63], 0 offset:436 ; 4-byte Folded Reload
	v_fma_f64 v[14:15], v[122:123], s[36:37], v[76:77]
	v_fma_f64 v[66:67], v[120:121], s[38:39], v[74:75]
	v_add_f64 v[6:7], v[64:65], v[6:7]
	v_add_f64 v[0:1], v[78:79], v[16:17]
	v_fma_f64 v[60:61], v[122:123], s[36:37], -v[76:77]
	v_add_f64 v[156:157], v[182:183], v[156:157]
	v_mov_b32_e32 v181, v244
	v_mov_b32_e32 v182, v245
	v_add_f64 v[14:15], v[14:15], v[58:59]
	v_fma_f64 v[58:59], v[120:121], s[38:39], -v[74:75]
	v_mov_b32_e32 v183, v246
	v_mov_b32_e32 v184, v247
	v_add_f64 v[60:61], v[60:61], v[62:63]
	v_mov_b32_e32 v246, v111
	v_add_f64 v[12:13], v[168:169], v[160:161]
	;; [unrolled: 2-line block ×3, first 2 shown]
	v_add_f64 v[14:15], v[152:153], v[156:157]
	v_mov_b32_e32 v244, v109
	v_mov_b32_e32 v243, v108
	;; [unrolled: 1-line block ×4, first 2 shown]
	v_add_f64 v[16:17], v[58:59], v[60:61]
	v_mov_b32_e32 v109, v253
	v_mov_b32_e32 v110, v254
	;; [unrolled: 1-line block ×23, first 2 shown]
	s_waitcnt vmcnt(0)
	v_lshl_add_u32 v56, v37, 4, v56
	ds_write_b128 v56, v[8:11]
	ds_write_b128 v56, v[4:7] offset:16
	ds_write_b128 v56, v[0:3] offset:32
	;; [unrolled: 1-line block ×6, first 2 shown]
	buffer_load_dword v0, off, s[60:63], 0 offset:936 ; 4-byte Folded Reload
	buffer_load_dword v1, off, s[60:63], 0 offset:940 ; 4-byte Folded Reload
	buffer_load_dword v2, off, s[60:63], 0 offset:944 ; 4-byte Folded Reload
	buffer_load_dword v3, off, s[60:63], 0 offset:948 ; 4-byte Folded Reload
	s_waitcnt vmcnt(0)
	ds_write_b128 v56, v[0:3] offset:112
	buffer_load_dword v0, off, s[60:63], 0 offset:920 ; 4-byte Folded Reload
	buffer_load_dword v1, off, s[60:63], 0 offset:924 ; 4-byte Folded Reload
	buffer_load_dword v2, off, s[60:63], 0 offset:928 ; 4-byte Folded Reload
	buffer_load_dword v3, off, s[60:63], 0 offset:932 ; 4-byte Folded Reload
	s_waitcnt vmcnt(0)
	ds_write_b128 v56, v[0:3] offset:128
	;; [unrolled: 6-line block ×5, first 2 shown]
	ds_write_b128 v56, v[44:47] offset:192
	ds_write_b128 v56, v[52:55] offset:208
	;; [unrolled: 1-line block ×5, first 2 shown]
.LBB0_13:
	s_or_b64 exec, exec, s[56:57]
	s_waitcnt lgkmcnt(0)
	; wave barrier
	s_waitcnt lgkmcnt(0)
	ds_read_b128 v[0:3], v107 offset:2176
	ds_read_b128 v[4:7], v107 offset:2448
	;; [unrolled: 1-line block ×4, first 2 shown]
	s_mov_b32 s0, 0xe8584caa
	s_waitcnt lgkmcnt(3)
	v_mul_f64 v[16:17], v[114:115], v[2:3]
	v_mul_f64 v[18:19], v[114:115], v[0:1]
	s_waitcnt lgkmcnt(2)
	v_mul_f64 v[20:21], v[114:115], v[6:7]
	v_mul_f64 v[22:23], v[114:115], v[4:5]
	;; [unrolled: 3-line block ×4, first 2 shown]
	v_fma_f64 v[16:17], v[112:113], v[0:1], v[16:17]
	v_fma_f64 v[18:19], v[112:113], v[2:3], -v[18:19]
	ds_read_b128 v[0:3], v107 offset:2720
	v_fma_f64 v[20:21], v[112:113], v[4:5], v[20:21]
	v_fma_f64 v[22:23], v[112:113], v[6:7], -v[22:23]
	ds_read_b128 v[4:7], v107 offset:2992
	v_fma_f64 v[24:25], v[227:228], v[8:9], v[24:25]
	s_waitcnt lgkmcnt(1)
	v_mul_f64 v[32:33], v[167:168], v[2:3]
	v_mul_f64 v[34:35], v[167:168], v[0:1]
	v_fma_f64 v[26:27], v[227:228], v[10:11], -v[26:27]
	v_fma_f64 v[28:29], v[227:228], v[12:13], v[28:29]
	v_fma_f64 v[30:31], v[227:228], v[14:15], -v[30:31]
	ds_read_b128 v[8:11], v107 offset:4896
	ds_read_b128 v[12:15], v107 offset:5168
	s_waitcnt lgkmcnt(2)
	v_mul_f64 v[36:37], v[175:176], v[6:7]
	v_mul_f64 v[38:39], v[175:176], v[4:5]
	v_fma_f64 v[32:33], v[165:166], v[0:1], v[32:33]
	v_fma_f64 v[34:35], v[165:166], v[2:3], -v[34:35]
	s_waitcnt lgkmcnt(1)
	v_mul_f64 v[0:1], v[163:164], v[10:11]
	v_mul_f64 v[2:3], v[163:164], v[8:9]
	v_add_f64 v[54:55], v[20:21], -v[28:29]
	s_mov_b32 s1, 0xbfebb67a
	v_fma_f64 v[44:45], v[173:174], v[4:5], v[36:37]
	v_fma_f64 v[46:47], v[173:174], v[6:7], -v[38:39]
	ds_read_b128 v[4:7], v107 offset:3536
	s_mov_b32 s5, 0x3febb67a
	v_fma_f64 v[40:41], v[161:162], v[8:9], v[0:1]
	v_fma_f64 v[42:43], v[161:162], v[10:11], -v[2:3]
	ds_read_b128 v[0:3], v107 offset:3264
	s_waitcnt lgkmcnt(2)
	v_mul_f64 v[8:9], v[171:172], v[14:15]
	v_mul_f64 v[10:11], v[171:172], v[12:13]
	s_mov_b32 s4, s0
	s_mul_hi_u32 s7, s8, 0x300
	s_waitcnt lgkmcnt(0)
	v_mul_f64 v[36:37], v[183:184], v[2:3]
	v_mul_f64 v[38:39], v[183:184], v[0:1]
	v_add_f64 v[72:73], v[32:33], v[40:41]
	v_add_f64 v[74:75], v[34:35], v[42:43]
	v_fma_f64 v[48:49], v[169:170], v[12:13], v[8:9]
	v_fma_f64 v[50:51], v[169:170], v[14:15], -v[10:11]
	ds_read_b128 v[8:11], v107 offset:5440
	ds_read_b128 v[12:15], v107 offset:5712
	s_mul_i32 s6, s8, 0x300
	v_fma_f64 v[56:57], v[181:182], v[0:1], v[36:37]
	v_fma_f64 v[58:59], v[181:182], v[2:3], -v[38:39]
	s_waitcnt lgkmcnt(1)
	v_mul_f64 v[0:1], v[179:180], v[10:11]
	v_mul_f64 v[2:3], v[179:180], v[8:9]
	v_mul_f64 v[36:37], v[191:192], v[6:7]
	v_mul_f64 v[38:39], v[191:192], v[4:5]
	v_fma_f64 v[60:61], v[177:178], v[8:9], v[0:1]
	v_fma_f64 v[62:63], v[177:178], v[10:11], -v[2:3]
	ds_read_b128 v[0:3], v107 offset:3808
	s_waitcnt lgkmcnt(1)
	v_mul_f64 v[8:9], v[187:188], v[14:15]
	v_mul_f64 v[10:11], v[187:188], v[12:13]
	v_fma_f64 v[64:65], v[189:190], v[4:5], v[36:37]
	v_fma_f64 v[66:67], v[189:190], v[6:7], -v[38:39]
	ds_read_b128 v[4:7], v107 offset:4080
	s_waitcnt lgkmcnt(1)
	v_mul_f64 v[36:37], v[204:205], v[2:3]
	v_mul_f64 v[38:39], v[204:205], v[0:1]
	v_fma_f64 v[68:69], v[185:186], v[12:13], v[8:9]
	v_fma_f64 v[70:71], v[185:186], v[14:15], -v[10:11]
	ds_read_b128 v[8:11], v107 offset:5984
	ds_read_b128 v[12:15], v107 offset:6256
	v_fma_f64 v[80:81], v[202:203], v[0:1], v[36:37]
	v_fma_f64 v[82:83], v[202:203], v[2:3], -v[38:39]
	s_waitcnt lgkmcnt(1)
	v_mul_f64 v[0:1], v[200:201], v[10:11]
	v_mul_f64 v[2:3], v[200:201], v[8:9]
	;; [unrolled: 1-line block ×4, first 2 shown]
	v_fma_f64 v[84:85], v[198:199], v[8:9], v[0:1]
	v_fma_f64 v[86:87], v[198:199], v[10:11], -v[2:3]
	ds_read_b128 v[0:3], v107
	v_fma_f64 v[88:89], v[222:223], v[4:5], v[36:37]
	s_waitcnt lgkmcnt(1)
	v_mul_f64 v[8:9], v[208:209], v[14:15]
	v_mul_f64 v[10:11], v[208:209], v[12:13]
	v_add_f64 v[36:37], v[16:17], v[24:25]
	v_fma_f64 v[90:91], v[222:223], v[6:7], -v[38:39]
	ds_read_b128 v[4:7], v107 offset:272
	s_waitcnt lgkmcnt(1)
	v_add_f64 v[38:39], v[0:1], v[16:17]
	v_add_f64 v[16:17], v[16:17], -v[24:25]
	v_add_f64 v[98:99], v[82:83], v[86:87]
	v_fma_f64 v[92:93], v[206:207], v[12:13], v[8:9]
	v_fma_f64 v[94:95], v[206:207], v[14:15], -v[10:11]
	v_add_f64 v[8:9], v[18:19], v[26:27]
	v_fma_f64 v[10:11], v[36:37], -0.5, v[0:1]
	v_add_f64 v[14:15], v[2:3], v[18:19]
	v_add_f64 v[36:37], v[20:21], v[28:29]
	;; [unrolled: 1-line block ×4, first 2 shown]
	v_add_f64 v[38:39], v[22:23], -v[30:31]
	s_waitcnt lgkmcnt(0)
	v_add_f64 v[22:23], v[6:7], v[22:23]
	v_add_f64 v[12:13], v[18:19], -v[26:27]
	v_fma_f64 v[18:19], v[8:9], -0.5, v[2:3]
	v_add_f64 v[2:3], v[14:15], v[26:27]
	v_add_f64 v[26:27], v[4:5], v[20:21]
	v_fma_f64 v[36:37], v[36:37], -0.5, v[4:5]
	v_fma_f64 v[52:53], v[24:25], -0.5, v[6:7]
	v_add_f64 v[96:97], v[80:81], v[84:85]
	v_add_f64 v[6:7], v[22:23], v[30:31]
	ds_read_b128 v[20:23], v107 offset:544
	v_fma_f64 v[8:9], v[12:13], s[0:1], v[10:11]
	v_fma_f64 v[12:13], v[12:13], s[4:5], v[10:11]
	;; [unrolled: 1-line block ×4, first 2 shown]
	v_add_f64 v[4:5], v[26:27], v[28:29]
	ds_read_b128 v[28:31], v107 offset:816
	v_fma_f64 v[16:17], v[38:39], s[0:1], v[36:37]
	v_fma_f64 v[24:25], v[38:39], s[4:5], v[36:37]
	s_waitcnt lgkmcnt(1)
	v_fma_f64 v[36:37], v[72:73], -0.5, v[20:21]
	v_fma_f64 v[38:39], v[74:75], -0.5, v[22:23]
	v_add_f64 v[20:21], v[20:21], v[32:33]
	v_add_f64 v[22:23], v[22:23], v[34:35]
	v_fma_f64 v[18:19], v[54:55], s[4:5], v[52:53]
	v_fma_f64 v[26:27], v[54:55], s[0:1], v[52:53]
	v_add_f64 v[34:35], v[34:35], -v[42:43]
	v_add_f64 v[52:53], v[32:33], -v[40:41]
	v_add_f64 v[74:75], v[58:59], v[62:63]
	v_add_f64 v[72:73], v[56:57], v[60:61]
	;; [unrolled: 1-line block ×6, first 2 shown]
	v_fma_f64 v[32:33], v[34:35], s[0:1], v[36:37]
	v_fma_f64 v[36:37], v[34:35], s[4:5], v[36:37]
	;; [unrolled: 1-line block ×4, first 2 shown]
	s_waitcnt lgkmcnt(0)
	v_fma_f64 v[52:53], v[40:41], -0.5, v[28:29]
	v_fma_f64 v[54:55], v[42:43], -0.5, v[30:31]
	v_add_f64 v[28:29], v[28:29], v[44:45]
	v_add_f64 v[30:31], v[30:31], v[46:47]
	v_add_f64 v[42:43], v[46:47], -v[50:51]
	v_add_f64 v[46:47], v[44:45], -v[48:49]
	v_add_f64 v[28:29], v[28:29], v[48:49]
	v_add_f64 v[30:31], v[30:31], v[50:51]
	v_fma_f64 v[40:41], v[42:43], s[0:1], v[52:53]
	v_fma_f64 v[44:45], v[42:43], s[4:5], v[52:53]
	;; [unrolled: 1-line block ×4, first 2 shown]
	ds_read_b128 v[48:51], v107 offset:1088
	ds_read_b128 v[52:55], v107 offset:1360
	s_waitcnt lgkmcnt(1)
	v_fma_f64 v[74:75], v[74:75], -0.5, v[50:51]
	v_add_f64 v[50:51], v[50:51], v[58:59]
	v_fma_f64 v[72:73], v[72:73], -0.5, v[48:49]
	v_add_f64 v[48:49], v[48:49], v[56:57]
	v_add_f64 v[58:59], v[58:59], -v[62:63]
	v_add_f64 v[50:51], v[50:51], v[62:63]
	v_add_f64 v[62:63], v[56:57], -v[60:61]
	v_add_f64 v[48:49], v[48:49], v[60:61]
	v_fma_f64 v[56:57], v[58:59], s[0:1], v[72:73]
	v_fma_f64 v[60:61], v[58:59], s[4:5], v[72:73]
	v_add_f64 v[72:73], v[64:65], v[68:69]
	v_fma_f64 v[58:59], v[62:63], s[4:5], v[74:75]
	v_fma_f64 v[62:63], v[62:63], s[0:1], v[74:75]
	v_add_f64 v[74:75], v[66:67], v[70:71]
	s_waitcnt lgkmcnt(0)
	v_fma_f64 v[72:73], v[72:73], -0.5, v[52:53]
	v_add_f64 v[52:53], v[52:53], v[64:65]
	v_fma_f64 v[74:75], v[74:75], -0.5, v[54:55]
	v_add_f64 v[54:55], v[54:55], v[66:67]
	v_add_f64 v[66:67], v[66:67], -v[70:71]
	v_add_f64 v[52:53], v[52:53], v[68:69]
	v_add_f64 v[54:55], v[54:55], v[70:71]
	v_add_f64 v[70:71], v[64:65], -v[68:69]
	v_fma_f64 v[64:65], v[66:67], s[0:1], v[72:73]
	v_fma_f64 v[68:69], v[66:67], s[4:5], v[72:73]
	;; [unrolled: 1-line block ×4, first 2 shown]
	ds_read_b128 v[72:75], v107 offset:1632
	ds_read_b128 v[76:79], v107 offset:1904
	s_waitcnt lgkmcnt(0)
	; wave barrier
	s_waitcnt lgkmcnt(0)
	v_fma_f64 v[98:99], v[98:99], -0.5, v[74:75]
	v_add_f64 v[74:75], v[74:75], v[82:83]
	v_fma_f64 v[96:97], v[96:97], -0.5, v[72:73]
	v_add_f64 v[72:73], v[72:73], v[80:81]
	v_add_f64 v[82:83], v[82:83], -v[86:87]
	v_add_f64 v[74:75], v[74:75], v[86:87]
	v_add_f64 v[86:87], v[80:81], -v[84:85]
	v_add_f64 v[72:73], v[72:73], v[84:85]
	v_fma_f64 v[80:81], v[82:83], s[0:1], v[96:97]
	v_fma_f64 v[84:85], v[82:83], s[4:5], v[96:97]
	v_add_f64 v[96:97], v[88:89], v[92:93]
	v_fma_f64 v[82:83], v[86:87], s[4:5], v[98:99]
	v_fma_f64 v[86:87], v[86:87], s[0:1], v[98:99]
	v_add_f64 v[98:99], v[90:91], v[94:95]
	v_fma_f64 v[96:97], v[96:97], -0.5, v[76:77]
	v_add_f64 v[76:77], v[76:77], v[88:89]
	v_fma_f64 v[98:99], v[98:99], -0.5, v[78:79]
	v_add_f64 v[78:79], v[78:79], v[90:91]
	v_add_f64 v[90:91], v[90:91], -v[94:95]
	v_add_f64 v[76:77], v[76:77], v[92:93]
	v_add_f64 v[78:79], v[78:79], v[94:95]
	v_add_f64 v[94:95], v[88:89], -v[92:93]
	v_fma_f64 v[88:89], v[90:91], s[0:1], v[96:97]
	v_fma_f64 v[92:93], v[90:91], s[4:5], v[96:97]
	;; [unrolled: 1-line block ×4, first 2 shown]
	ds_write_b128 v107, v[0:3]
	ds_write_b128 v107, v[8:11] offset:272
	ds_write_b128 v107, v[12:15] offset:544
	;; [unrolled: 1-line block ×23, first 2 shown]
	s_waitcnt lgkmcnt(0)
	; wave barrier
	s_waitcnt lgkmcnt(0)
	ds_read_b128 v[0:3], v107
	ds_read_b128 v[4:7], v107 offset:272
	ds_read_b128 v[8:11], v107 offset:1632
	ds_read_b128 v[12:15], v107 offset:1904
	ds_read_b128 v[16:19], v107 offset:3264
	ds_read_b128 v[20:23], v107 offset:3536
	ds_read_b128 v[24:27], v107 offset:4896
	ds_read_b128 v[28:31], v107 offset:5168
	ds_read_b128 v[32:35], v107 offset:816
	ds_read_b128 v[36:39], v107 offset:544
	ds_read_b128 v[40:43], v107 offset:1088
	ds_read_b128 v[44:47], v107 offset:1360
	ds_read_b128 v[48:51], v107 offset:2448
	ds_read_b128 v[52:55], v107 offset:2176
	ds_read_b128 v[56:59], v107 offset:2720
	ds_read_b128 v[60:63], v107 offset:2992
	s_waitcnt lgkmcnt(7)
	v_mul_f64 v[80:81], v[110:111], v[34:35]
	v_mul_f64 v[82:83], v[110:111], v[32:33]
	;; [unrolled: 1-line block ×4, first 2 shown]
	ds_read_b128 v[64:67], v107 offset:4080
	ds_read_b128 v[68:71], v107 offset:3808
	;; [unrolled: 1-line block ×4, first 2 shown]
	s_waitcnt lgkmcnt(7)
	v_mul_f64 v[88:89], v[254:255], v[50:51]
	v_mul_f64 v[90:91], v[254:255], v[48:49]
	v_fma_f64 v[80:81], v[108:109], v[32:33], v[80:81]
	v_fma_f64 v[82:83], v[108:109], v[34:35], -v[82:83]
	v_fma_f64 v[84:85], v[235:236], v[8:9], v[84:85]
	v_fma_f64 v[86:87], v[235:236], v[10:11], -v[86:87]
	ds_read_b128 v[8:11], v107 offset:5712
	ds_read_b128 v[32:35], v107 offset:5440
	buffer_load_dword v108, off, s[60:63], 0 offset:552 ; 4-byte Folded Reload
	buffer_load_dword v109, off, s[60:63], 0 offset:556 ; 4-byte Folded Reload
	;; [unrolled: 1-line block ×4, first 2 shown]
	v_mul_f64 v[92:93], v[212:213], v[18:19]
	v_mul_f64 v[94:95], v[212:213], v[16:17]
	v_fma_f64 v[88:89], v[252:253], v[48:49], v[88:89]
	v_fma_f64 v[90:91], v[252:253], v[50:51], -v[90:91]
	v_mul_f64 v[96:97], v[245:246], v[26:27]
	v_mul_f64 v[98:99], v[245:246], v[24:25]
	s_waitcnt lgkmcnt(1)
	v_mul_f64 v[100:101], v[241:242], v[10:11]
	v_mul_f64 v[102:103], v[241:242], v[8:9]
	v_fma_f64 v[92:93], v[210:211], v[16:17], v[92:93]
	v_fma_f64 v[94:95], v[210:211], v[18:19], -v[94:95]
	s_mov_b32 s0, 0x667f3bcd
	s_mov_b32 s1, 0xbfe6a09e
	v_fma_f64 v[24:25], v[243:244], v[24:25], v[96:97]
	v_fma_f64 v[26:27], v[243:244], v[26:27], -v[98:99]
	v_fma_f64 v[8:9], v[239:240], v[8:9], v[100:101]
	v_fma_f64 v[10:11], v[239:240], v[10:11], -v[102:103]
	s_mov_b32 s5, 0x3fe6a09e
	s_mov_b32 s4, s0
	v_add_f64 v[24:25], v[84:85], -v[24:25]
	v_add_f64 v[26:27], v[86:87], -v[26:27]
	;; [unrolled: 1-line block ×4, first 2 shown]
	s_waitcnt vmcnt(0)
	v_mul_f64 v[48:49], v[110:111], v[66:67]
	v_mul_f64 v[50:51], v[110:111], v[64:65]
	v_fma_f64 v[64:65], v[108:109], v[64:65], v[48:49]
	v_fma_f64 v[66:67], v[108:109], v[66:67], -v[50:51]
	ds_read_b128 v[16:19], v107 offset:5984
	ds_read_b128 v[48:51], v107 offset:6256
	buffer_load_dword v126, off, s[60:63], 0 offset:600 ; 4-byte Folded Reload
	buffer_load_dword v127, off, s[60:63], 0 offset:604 ; 4-byte Folded Reload
	;; [unrolled: 1-line block ×16, first 2 shown]
	s_waitcnt vmcnt(12)
	v_mul_f64 v[96:97], v[128:129], v[42:43]
	v_mul_f64 v[98:99], v[128:129], v[40:41]
	s_waitcnt vmcnt(8)
	v_mul_f64 v[100:101], v[124:125], v[14:15]
	v_mul_f64 v[102:103], v[124:125], v[12:13]
	;; [unrolled: 3-line block ×4, first 2 shown]
	v_fma_f64 v[40:41], v[126:127], v[40:41], v[96:97]
	v_fma_f64 v[42:43], v[126:127], v[42:43], -v[98:99]
	v_fma_f64 v[96:97], v[122:123], v[12:13], v[100:101]
	v_fma_f64 v[98:99], v[122:123], v[14:15], -v[102:103]
	buffer_load_dword v122, off, s[60:63], 0 offset:696 ; 4-byte Folded Reload
	buffer_load_dword v123, off, s[60:63], 0 offset:700 ; 4-byte Folded Reload
	;; [unrolled: 1-line block ×4, first 2 shown]
	v_fma_f64 v[56:57], v[118:119], v[56:57], v[104:105]
	v_fma_f64 v[58:59], v[118:119], v[58:59], -v[108:109]
	v_fma_f64 v[20:21], v[114:115], v[20:21], v[110:111]
	v_fma_f64 v[22:23], v[114:115], v[22:23], -v[112:113]
	buffer_load_dword v118, off, s[60:63], 0 offset:584 ; 4-byte Folded Reload
	buffer_load_dword v119, off, s[60:63], 0 offset:588 ; 4-byte Folded Reload
	;; [unrolled: 1-line block ×8, first 2 shown]
	s_waitcnt vmcnt(8)
	v_mul_f64 v[12:13], v[124:125], v[74:75]
	v_mul_f64 v[14:15], v[124:125], v[72:73]
	buffer_load_dword v124, off, s[60:63], 0 offset:712 ; 4-byte Folded Reload
	buffer_load_dword v125, off, s[60:63], 0 offset:716 ; 4-byte Folded Reload
	;; [unrolled: 1-line block ×4, first 2 shown]
	s_waitcnt vmcnt(8)
	v_mul_f64 v[100:101], v[120:121], v[30:31]
	v_mul_f64 v[102:103], v[120:121], v[28:29]
	s_waitcnt vmcnt(4) lgkmcnt(1)
	v_mul_f64 v[104:105], v[116:117], v[18:19]
	v_mul_f64 v[108:109], v[116:117], v[16:17]
	v_fma_f64 v[72:73], v[122:123], v[72:73], v[12:13]
	v_fma_f64 v[74:75], v[122:123], v[74:75], -v[14:15]
	v_fma_f64 v[28:29], v[118:119], v[28:29], v[100:101]
	v_fma_f64 v[30:31], v[118:119], v[30:31], -v[102:103]
	;; [unrolled: 2-line block ×3, first 2 shown]
	buffer_load_dword v116, off, s[60:63], 0 offset:680 ; 4-byte Folded Reload
	buffer_load_dword v117, off, s[60:63], 0 offset:684 ; 4-byte Folded Reload
	;; [unrolled: 1-line block ×4, first 2 shown]
	v_add_f64 v[28:29], v[96:97], -v[28:29]
	v_add_f64 v[30:31], v[98:99], -v[30:31]
	s_waitcnt vmcnt(4)
	v_mul_f64 v[110:111], v[126:127], v[46:47]
	v_mul_f64 v[112:113], v[126:127], v[44:45]
	v_fma_f64 v[104:105], v[124:125], v[44:45], v[110:111]
	v_fma_f64 v[108:109], v[124:125], v[46:47], -v[112:113]
	buffer_load_dword v122, off, s[60:63], 0 offset:664 ; 4-byte Folded Reload
	buffer_load_dword v123, off, s[60:63], 0 offset:668 ; 4-byte Folded Reload
	;; [unrolled: 1-line block ×4, first 2 shown]
	s_waitcnt vmcnt(4)
	v_mul_f64 v[12:13], v[118:119], v[54:55]
	v_mul_f64 v[14:15], v[118:119], v[52:53]
	buffer_load_dword v118, off, s[60:63], 0 offset:632 ; 4-byte Folded Reload
	buffer_load_dword v119, off, s[60:63], 0 offset:636 ; 4-byte Folded Reload
	;; [unrolled: 1-line block ×4, first 2 shown]
	v_fma_f64 v[114:115], v[116:117], v[52:53], v[12:13]
	v_fma_f64 v[116:117], v[116:117], v[54:55], -v[14:15]
	v_fma_f64 v[52:53], v[84:85], 2.0, -v[24:25]
	v_fma_f64 v[54:55], v[86:87], 2.0, -v[26:27]
	s_waitcnt vmcnt(4)
	v_mul_f64 v[16:17], v[124:125], v[62:63]
	v_mul_f64 v[18:19], v[124:125], v[60:61]
	buffer_load_dword v124, off, s[60:63], 0 offset:728 ; 4-byte Folded Reload
	buffer_load_dword v125, off, s[60:63], 0 offset:732 ; 4-byte Folded Reload
	;; [unrolled: 1-line block ×4, first 2 shown]
	s_waitcnt vmcnt(4)
	v_mul_f64 v[44:45], v[120:121], v[70:71]
	v_fma_f64 v[60:61], v[122:123], v[60:61], v[16:17]
	v_fma_f64 v[62:63], v[122:123], v[62:63], -v[18:19]
	v_add_f64 v[16:17], v[0:1], -v[92:93]
	v_add_f64 v[18:19], v[2:3], -v[94:95]
	v_mul_f64 v[46:47], v[120:121], v[68:69]
	v_fma_f64 v[68:69], v[118:119], v[68:69], v[44:45]
	v_add_f64 v[44:45], v[80:81], -v[64:65]
	v_fma_f64 v[0:1], v[0:1], 2.0, -v[16:17]
	v_fma_f64 v[2:3], v[2:3], 2.0, -v[18:19]
	v_fma_f64 v[70:71], v[118:119], v[70:71], -v[46:47]
	v_add_f64 v[46:47], v[82:83], -v[66:67]
	v_add_f64 v[84:85], v[16:17], v[26:27]
	v_add_f64 v[86:87], v[18:19], -v[24:25]
	v_fma_f64 v[64:65], v[80:81], 2.0, -v[44:45]
	v_fma_f64 v[80:81], v[88:89], 2.0, -v[8:9]
	v_add_f64 v[26:27], v[44:45], v[10:11]
	v_add_f64 v[52:53], v[0:1], -v[52:53]
	v_add_f64 v[54:55], v[2:3], -v[54:55]
	v_fma_f64 v[66:67], v[82:83], 2.0, -v[46:47]
	v_fma_f64 v[82:83], v[90:91], 2.0, -v[10:11]
	v_add_f64 v[24:25], v[46:47], -v[8:9]
	v_fma_f64 v[16:17], v[16:17], 2.0, -v[84:85]
	v_add_f64 v[80:81], v[64:65], -v[80:81]
	v_fma_f64 v[18:19], v[18:19], 2.0, -v[86:87]
	v_fma_f64 v[10:11], v[44:45], 2.0, -v[26:27]
	;; [unrolled: 1-line block ×3, first 2 shown]
	v_add_f64 v[68:69], v[36:37], -v[68:69]
	v_add_f64 v[82:83], v[66:67], -v[82:83]
	v_fma_f64 v[8:9], v[46:47], 2.0, -v[24:25]
	v_fma_f64 v[46:47], v[2:3], 2.0, -v[54:55]
	;; [unrolled: 1-line block ×3, first 2 shown]
	v_add_f64 v[70:71], v[38:39], -v[70:71]
	v_fma_f64 v[64:65], v[10:11], s[0:1], v[16:17]
	v_fma_f64 v[2:3], v[66:67], 2.0, -v[82:83]
	v_fma_f64 v[66:67], v[8:9], s[0:1], v[18:19]
	v_add_f64 v[0:1], v[44:45], -v[0:1]
	v_fma_f64 v[8:9], v[8:9], s[4:5], v[64:65]
	v_add_f64 v[2:3], v[46:47], -v[2:3]
	v_fma_f64 v[10:11], v[10:11], s[0:1], v[66:67]
	v_fma_f64 v[16:17], v[16:17], 2.0, -v[8:9]
	v_fma_f64 v[18:19], v[18:19], 2.0, -v[10:11]
	s_waitcnt vmcnt(0)
	v_mul_f64 v[110:111], v[126:127], v[78:79]
	v_mul_f64 v[112:113], v[126:127], v[76:77]
	v_fma_f64 v[76:77], v[124:125], v[76:77], v[110:111]
	v_fma_f64 v[78:79], v[124:125], v[78:79], -v[112:113]
	buffer_load_dword v110, off, s[60:63], 0 offset:648 ; 4-byte Folded Reload
	buffer_load_dword v111, off, s[60:63], 0 offset:652 ; 4-byte Folded Reload
	;; [unrolled: 1-line block ×8, first 2 shown]
	v_add_f64 v[76:77], v[104:105], -v[76:77]
	v_add_f64 v[78:79], v[108:109], -v[78:79]
	s_waitcnt vmcnt(4)
	v_mul_f64 v[12:13], v[112:113], v[34:35]
	v_mul_f64 v[14:15], v[112:113], v[32:33]
	s_waitcnt vmcnt(0) lgkmcnt(0)
	v_mul_f64 v[88:89], v[94:95], v[50:51]
	v_mul_f64 v[90:91], v[94:95], v[48:49]
	v_fma_f64 v[64:65], v[110:111], v[32:33], v[12:13]
	v_fma_f64 v[66:67], v[110:111], v[34:35], -v[14:15]
	v_fma_f64 v[88:89], v[92:93], v[48:49], v[88:89]
	v_fma_f64 v[90:91], v[92:93], v[50:51], -v[90:91]
	v_fma_f64 v[12:13], v[44:45], 2.0, -v[0:1]
	v_fma_f64 v[14:15], v[46:47], 2.0, -v[2:3]
	v_add_f64 v[32:33], v[4:5], -v[20:21]
	v_add_f64 v[34:35], v[6:7], -v[22:23]
	;; [unrolled: 1-line block ×6, first 2 shown]
	v_add_f64 v[20:21], v[52:53], v[82:83]
	v_add_f64 v[22:23], v[54:55], -v[80:81]
	v_fma_f64 v[4:5], v[4:5], 2.0, -v[32:33]
	v_fma_f64 v[6:7], v[6:7], 2.0, -v[34:35]
	v_fma_f64 v[72:73], v[96:97], 2.0, -v[28:29]
	v_fma_f64 v[74:75], v[98:99], 2.0, -v[30:31]
	v_fma_f64 v[40:41], v[40:41], 2.0, -v[44:45]
	v_fma_f64 v[42:43], v[42:43], 2.0, -v[46:47]
	v_add_f64 v[80:81], v[32:33], v[30:31]
	v_add_f64 v[82:83], v[34:35], -v[28:29]
	v_fma_f64 v[28:29], v[56:57], 2.0, -v[48:49]
	v_fma_f64 v[30:31], v[58:59], 2.0, -v[50:51]
	v_add_f64 v[92:93], v[44:45], v[50:51]
	v_add_f64 v[94:95], v[46:47], -v[48:49]
	v_add_f64 v[56:57], v[4:5], -v[72:73]
	;; [unrolled: 1-line block ×3, first 2 shown]
	v_fma_f64 v[72:73], v[32:33], 2.0, -v[80:81]
	v_fma_f64 v[74:75], v[34:35], 2.0, -v[82:83]
	v_add_f64 v[48:49], v[40:41], -v[28:29]
	v_add_f64 v[50:51], v[42:43], -v[30:31]
	v_fma_f64 v[34:35], v[44:45], 2.0, -v[92:93]
	v_fma_f64 v[32:33], v[46:47], 2.0, -v[94:95]
	v_fma_f64 v[28:29], v[26:27], s[4:5], v[84:85]
	v_fma_f64 v[30:31], v[24:25], s[4:5], v[86:87]
	v_fma_f64 v[96:97], v[4:5], 2.0, -v[56:57]
	v_fma_f64 v[98:99], v[6:7], 2.0, -v[58:59]
	;; [unrolled: 1-line block ×4, first 2 shown]
	v_fma_f64 v[44:45], v[34:35], s[0:1], v[72:73]
	v_fma_f64 v[46:47], v[32:33], s[0:1], v[74:75]
	;; [unrolled: 1-line block ×4, first 2 shown]
	v_add_f64 v[64:65], v[114:115], -v[64:65]
	v_add_f64 v[66:67], v[116:117], -v[66:67]
	;; [unrolled: 1-line block ×4, first 2 shown]
	v_fma_f64 v[32:33], v[32:33], s[4:5], v[44:45]
	v_fma_f64 v[34:35], v[34:35], s[0:1], v[46:47]
	v_fma_f64 v[44:45], v[84:85], 2.0, -v[24:25]
	v_fma_f64 v[46:47], v[86:87], 2.0, -v[26:27]
	v_fma_f64 v[84:85], v[36:37], 2.0, -v[68:69]
	v_fma_f64 v[86:87], v[38:39], 2.0, -v[70:71]
	v_add_f64 v[36:37], v[60:61], -v[88:89]
	v_add_f64 v[38:39], v[62:63], -v[90:91]
	v_add_f64 v[40:41], v[56:57], v[50:51]
	v_add_f64 v[42:43], v[58:59], -v[48:49]
	v_fma_f64 v[48:49], v[96:97], 2.0, -v[28:29]
	v_fma_f64 v[50:51], v[98:99], 2.0, -v[30:31]
	;; [unrolled: 1-line block ×6, first 2 shown]
	v_add_f64 v[100:101], v[68:69], v[66:67]
	v_add_f64 v[102:103], v[70:71], -v[64:65]
	v_fma_f64 v[60:61], v[60:61], 2.0, -v[36:37]
	v_fma_f64 v[62:63], v[62:63], 2.0, -v[38:39]
	v_add_f64 v[104:105], v[76:77], v[38:39]
	v_add_f64 v[108:109], v[78:79], -v[36:37]
	v_fma_f64 v[4:5], v[52:53], 2.0, -v[20:21]
	v_fma_f64 v[6:7], v[54:55], 2.0, -v[22:23]
	;; [unrolled: 1-line block ×4, first 2 shown]
	v_fma_f64 v[72:73], v[92:93], s[4:5], v[80:81]
	v_fma_f64 v[74:75], v[94:95], s[4:5], v[82:83]
	v_add_f64 v[88:89], v[84:85], -v[88:89]
	v_add_f64 v[90:91], v[86:87], -v[90:91]
	v_fma_f64 v[110:111], v[68:69], 2.0, -v[100:101]
	v_fma_f64 v[112:113], v[70:71], 2.0, -v[102:103]
	v_add_f64 v[114:115], v[96:97], -v[60:61]
	v_add_f64 v[116:117], v[98:99], -v[62:63]
	v_fma_f64 v[70:71], v[76:77], 2.0, -v[104:105]
	v_fma_f64 v[68:69], v[78:79], 2.0, -v[108:109]
	v_fma_f64 v[36:37], v[94:95], s[4:5], v[72:73]
	v_fma_f64 v[38:39], v[92:93], s[0:1], v[74:75]
	v_fma_f64 v[84:85], v[84:85], 2.0, -v[88:89]
	v_fma_f64 v[86:87], v[86:87], 2.0, -v[90:91]
	;; [unrolled: 1-line block ×4, first 2 shown]
	v_fma_f64 v[72:73], v[70:71], s[0:1], v[110:111]
	v_fma_f64 v[74:75], v[68:69], s[0:1], v[112:113]
	;; [unrolled: 1-line block ×4, first 2 shown]
	v_fma_f64 v[56:57], v[56:57], 2.0, -v[40:41]
	v_fma_f64 v[58:59], v[58:59], 2.0, -v[42:43]
	v_add_f64 v[64:65], v[84:85], -v[64:65]
	v_add_f64 v[66:67], v[86:87], -v[66:67]
	v_fma_f64 v[68:69], v[68:69], s[4:5], v[72:73]
	v_fma_f64 v[70:71], v[70:71], s[0:1], v[74:75]
	v_add_f64 v[72:73], v[88:89], v[116:117]
	v_add_f64 v[74:75], v[90:91], -v[114:115]
	v_fma_f64 v[76:77], v[108:109], s[4:5], v[76:77]
	v_fma_f64 v[78:79], v[104:105], s[0:1], v[78:79]
	v_fma_f64 v[60:61], v[80:81], 2.0, -v[36:37]
	v_fma_f64 v[62:63], v[82:83], 2.0, -v[38:39]
	;; [unrolled: 1-line block ×10, first 2 shown]
	ds_write_b128 v107, v[12:15]
	ds_write_b128 v107, v[16:19] offset:816
	ds_write_b128 v107, v[4:7] offset:1632
	;; [unrolled: 1-line block ×23, first 2 shown]
	s_waitcnt lgkmcnt(0)
	; wave barrier
	s_waitcnt lgkmcnt(0)
	ds_read_b128 v[0:3], v107
	buffer_load_dword v4, off, s[60:63], 0 offset:140 ; 4-byte Folded Reload
	buffer_load_dword v5, off, s[60:63], 0 offset:144 ; 4-byte Folded Reload
	s_mov_b32 s4, 0x14141414
	s_mov_b32 s5, 0x3f641414
	s_waitcnt vmcnt(1)
	v_mov_b32_e32 v14, v4
	s_waitcnt vmcnt(0)
	ds_read_b128 v[4:7], v107 offset:384
	buffer_load_dword v16, off, s[60:63], 0 offset:156 ; 4-byte Folded Reload
	buffer_load_dword v17, off, s[60:63], 0 offset:160 ; 4-byte Folded Reload
	;; [unrolled: 1-line block ×4, first 2 shown]
	v_mad_u64_u32 v[12:13], s[0:1], s10, v14, 0
	v_mad_u64_u32 v[13:14], s[0:1], s11, v14, v[13:14]
	;; [unrolled: 1-line block ×3, first 2 shown]
	s_waitcnt vmcnt(0) lgkmcnt(1)
	v_mul_f64 v[8:9], v[18:19], v[2:3]
	v_mul_f64 v[10:11], v[18:19], v[0:1]
	buffer_load_dword v18, off, s[60:63], 0 offset:420 ; 4-byte Folded Reload
	buffer_load_dword v19, off, s[60:63], 0 offset:424 ; 4-byte Folded Reload
	;; [unrolled: 1-line block ×4, first 2 shown]
	v_fma_f64 v[0:1], v[16:17], v[0:1], v[8:9]
	v_mov_b32_e32 v8, v15
	v_fma_f64 v[2:3], v[16:17], v[2:3], -v[10:11]
	v_mad_u64_u32 v[15:16], s[0:1], s9, v158, v[8:9]
	v_mul_f64 v[8:9], v[0:1], s[4:5]
	v_lshlrev_b64 v[0:1], 4, v[12:13]
	v_mul_f64 v[10:11], v[2:3], s[4:5]
	v_mov_b32_e32 v3, s3
	v_add_co_u32_e64 v2, s[0:1], s2, v0
	v_addc_co_u32_e64 v3, s[0:1], v3, v1, s[0:1]
	v_lshlrev_b64 v[0:1], 4, v[14:15]
	v_add_co_u32_e64 v0, s[0:1], v2, v0
	v_addc_co_u32_e64 v1, s[0:1], v3, v1, s[0:1]
	global_store_dwordx4 v[0:1], v[8:11], off
	s_mul_i32 s0, s9, 24
	s_mul_hi_u32 s1, s8, 24
	s_add_i32 s1, s1, s0
	s_mul_i32 s0, s8, 24
	s_lshl_b64 s[2:3], s[0:1], 4
	v_mov_b32_e32 v27, s3
	v_add_co_u32_e64 v0, s[0:1], s2, v0
	v_addc_co_u32_e64 v1, s[0:1], v1, v27, s[0:1]
	s_waitcnt vmcnt(1) lgkmcnt(0)
	v_mul_f64 v[12:13], v[20:21], v[6:7]
	v_mul_f64 v[16:17], v[20:21], v[4:5]
	v_fma_f64 v[12:13], v[18:19], v[4:5], v[12:13]
	v_fma_f64 v[14:15], v[18:19], v[6:7], -v[16:17]
	ds_read_b128 v[4:7], v107 offset:768
	v_mul_f64 v[8:9], v[12:13], s[4:5]
	v_mul_f64 v[10:11], v[14:15], s[4:5]
	ds_read_b128 v[12:15], v107 offset:1152
	buffer_load_dword v20, off, s[60:63], 0 offset:404 ; 4-byte Folded Reload
	buffer_load_dword v21, off, s[60:63], 0 offset:408 ; 4-byte Folded Reload
	;; [unrolled: 1-line block ×4, first 2 shown]
	s_waitcnt vmcnt(0) lgkmcnt(1)
	v_mul_f64 v[16:17], v[22:23], v[6:7]
	v_mul_f64 v[18:19], v[22:23], v[4:5]
	v_fma_f64 v[4:5], v[20:21], v[4:5], v[16:17]
	v_fma_f64 v[6:7], v[20:21], v[6:7], -v[18:19]
	buffer_load_dword v20, off, s[60:63], 0 offset:388 ; 4-byte Folded Reload
	buffer_load_dword v21, off, s[60:63], 0 offset:392 ; 4-byte Folded Reload
	;; [unrolled: 1-line block ×4, first 2 shown]
	v_mul_f64 v[4:5], v[4:5], s[4:5]
	v_mul_f64 v[6:7], v[6:7], s[4:5]
	global_store_dwordx4 v[0:1], v[8:11], off
	v_add_co_u32_e64 v0, s[0:1], s2, v0
	v_addc_co_u32_e64 v1, s[0:1], v1, v27, s[0:1]
	ds_read_b128 v[8:11], v107 offset:1536
	global_store_dwordx4 v[0:1], v[4:7], off
	s_waitcnt vmcnt(2) lgkmcnt(1)
	v_mul_f64 v[16:17], v[22:23], v[14:15]
	v_mul_f64 v[18:19], v[22:23], v[12:13]
	v_fma_f64 v[12:13], v[20:21], v[12:13], v[16:17]
	v_fma_f64 v[14:15], v[20:21], v[14:15], -v[18:19]
	v_mul_f64 v[4:5], v[12:13], s[4:5]
	v_mul_f64 v[6:7], v[14:15], s[4:5]
	ds_read_b128 v[12:15], v107 offset:1920
	buffer_load_dword v22, off, s[60:63], 0 offset:356 ; 4-byte Folded Reload
	buffer_load_dword v23, off, s[60:63], 0 offset:360 ; 4-byte Folded Reload
	;; [unrolled: 1-line block ×4, first 2 shown]
	s_waitcnt vmcnt(0) lgkmcnt(1)
	v_mul_f64 v[16:17], v[24:25], v[10:11]
	v_mul_f64 v[18:19], v[24:25], v[8:9]
	buffer_load_dword v24, off, s[60:63], 0 offset:152 ; 4-byte Folded Reload
	buffer_load_dword v28, off, s[60:63], 0 offset:324 ; 4-byte Folded Reload
	;; [unrolled: 1-line block ×5, first 2 shown]
	v_fma_f64 v[8:9], v[22:23], v[8:9], v[16:17]
	v_fma_f64 v[10:11], v[22:23], v[10:11], -v[18:19]
	s_waitcnt vmcnt(4)
	v_mad_u64_u32 v[20:21], s[0:1], s8, v24, 0
	s_waitcnt vmcnt(0) lgkmcnt(0)
	v_mul_f64 v[17:18], v[30:31], v[14:15]
	v_add_co_u32_e64 v0, s[0:1], s2, v0
	v_mov_b32_e32 v16, v21
	v_mul_f64 v[22:23], v[30:31], v[12:13]
	v_addc_co_u32_e64 v1, s[0:1], v1, v27, s[0:1]
	global_store_dwordx4 v[0:1], v[4:7], off
	v_mad_u64_u32 v[24:25], s[0:1], s9, v24, v[16:17]
	v_mul_f64 v[4:5], v[8:9], s[4:5]
	v_mul_f64 v[6:7], v[10:11], s[4:5]
	v_fma_f64 v[12:13], v[28:29], v[12:13], v[17:18]
	v_mov_b32_e32 v21, v24
	v_lshlrev_b64 v[19:20], 4, v[20:21]
	v_fma_f64 v[16:17], v[28:29], v[14:15], -v[22:23]
	v_add_co_u32_e64 v14, s[0:1], v2, v19
	v_addc_co_u32_e64 v15, s[0:1], v3, v20, s[0:1]
	global_store_dwordx4 v[14:15], v[4:7], off
	ds_read_b128 v[8:11], v107 offset:2304
	v_mul_f64 v[4:5], v[12:13], s[4:5]
	ds_read_b128 v[12:15], v107 offset:2688
	buffer_load_dword v23, off, s[60:63], 0 offset:196 ; 4-byte Folded Reload
	buffer_load_dword v24, off, s[60:63], 0 offset:200 ; 4-byte Folded Reload
	;; [unrolled: 1-line block ×4, first 2 shown]
	v_mul_f64 v[6:7], v[16:17], s[4:5]
	s_mul_i32 s0, s9, 0x300
	s_add_i32 s7, s7, s0
	v_mov_b32_e32 v22, s7
	v_add_co_u32_e64 v0, s[0:1], s6, v0
	v_addc_co_u32_e64 v1, s[0:1], v1, v22, s[0:1]
	s_waitcnt vmcnt(0) lgkmcnt(1)
	v_mul_f64 v[18:19], v[25:26], v[10:11]
	v_mul_f64 v[20:21], v[25:26], v[8:9]
	v_fma_f64 v[8:9], v[23:24], v[8:9], v[18:19]
	v_fma_f64 v[10:11], v[23:24], v[10:11], -v[20:21]
	buffer_load_dword v23, off, s[60:63], 0 offset:172 ; 4-byte Folded Reload
	buffer_load_dword v24, off, s[60:63], 0 offset:176 ; 4-byte Folded Reload
	;; [unrolled: 1-line block ×4, first 2 shown]
	s_waitcnt vmcnt(0) lgkmcnt(0)
	v_mul_f64 v[16:17], v[25:26], v[14:15]
	v_mul_f64 v[18:19], v[25:26], v[12:13]
	global_store_dwordx4 v[0:1], v[4:7], off
	v_add_co_u32_e64 v0, s[0:1], s2, v0
	v_mul_f64 v[4:5], v[8:9], s[4:5]
	v_mul_f64 v[6:7], v[10:11], s[4:5]
	v_addc_co_u32_e64 v1, s[0:1], v1, v27, s[0:1]
	v_fma_f64 v[12:13], v[23:24], v[12:13], v[16:17]
	v_fma_f64 v[14:15], v[23:24], v[14:15], -v[18:19]
	ds_read_b128 v[8:11], v107 offset:3072
	global_store_dwordx4 v[0:1], v[4:7], off
	s_nop 0
	v_mul_f64 v[4:5], v[12:13], s[4:5]
	v_mul_f64 v[6:7], v[14:15], s[4:5]
	ds_read_b128 v[12:15], v107 offset:3456
	buffer_load_dword v23, off, s[60:63], 0 offset:308 ; 4-byte Folded Reload
	buffer_load_dword v24, off, s[60:63], 0 offset:312 ; 4-byte Folded Reload
	buffer_load_dword v25, off, s[60:63], 0 offset:316 ; 4-byte Folded Reload
	buffer_load_dword v26, off, s[60:63], 0 offset:320 ; 4-byte Folded Reload
	buffer_load_dword v22, off, s[60:63], 0 offset:148 ; 4-byte Folded Reload
	buffer_load_dword v28, off, s[60:63], 0 offset:228 ; 4-byte Folded Reload
	buffer_load_dword v29, off, s[60:63], 0 offset:232 ; 4-byte Folded Reload
	buffer_load_dword v30, off, s[60:63], 0 offset:236 ; 4-byte Folded Reload
	buffer_load_dword v31, off, s[60:63], 0 offset:240 ; 4-byte Folded Reload
	s_waitcnt vmcnt(5) lgkmcnt(1)
	v_mul_f64 v[16:17], v[25:26], v[10:11]
	v_mul_f64 v[18:19], v[25:26], v[8:9]
	s_waitcnt vmcnt(4)
	v_mad_u64_u32 v[20:21], s[0:1], s8, v22, 0
	v_add_co_u32_e64 v0, s[0:1], s2, v0
	v_addc_co_u32_e64 v1, s[0:1], v1, v27, s[0:1]
	v_fma_f64 v[8:9], v[23:24], v[8:9], v[16:17]
	v_mov_b32_e32 v16, v21
	v_mad_u64_u32 v[16:17], s[0:1], s9, v22, v[16:17]
	v_fma_f64 v[10:11], v[23:24], v[10:11], -v[18:19]
	s_waitcnt vmcnt(0) lgkmcnt(0)
	v_mul_f64 v[17:18], v[30:31], v[14:15]
	v_mul_f64 v[22:23], v[30:31], v[12:13]
	global_store_dwordx4 v[0:1], v[4:7], off
	v_mov_b32_e32 v21, v16
	v_mul_f64 v[4:5], v[8:9], s[4:5]
	v_lshlrev_b64 v[19:20], 4, v[20:21]
	v_mul_f64 v[6:7], v[10:11], s[4:5]
	ds_read_b128 v[8:11], v107 offset:3840
	v_fma_f64 v[16:17], v[28:29], v[12:13], v[17:18]
	v_fma_f64 v[21:22], v[28:29], v[14:15], -v[22:23]
	ds_read_b128 v[12:15], v107 offset:4224
	buffer_load_dword v28, off, s[60:63], 0 offset:212 ; 4-byte Folded Reload
	buffer_load_dword v29, off, s[60:63], 0 offset:216 ; 4-byte Folded Reload
	;; [unrolled: 1-line block ×4, first 2 shown]
	v_add_co_u32_e64 v18, s[0:1], v2, v19
	v_addc_co_u32_e64 v19, s[0:1], v3, v20, s[0:1]
	global_store_dwordx4 v[18:19], v[4:7], off
	v_mov_b32_e32 v20, s7
	v_mul_f64 v[6:7], v[21:22], s[4:5]
	v_mul_f64 v[4:5], v[16:17], s[4:5]
	v_add_co_u32_e64 v0, s[0:1], s6, v0
	v_addc_co_u32_e64 v1, s[0:1], v1, v20, s[0:1]
	s_waitcnt vmcnt(1) lgkmcnt(1)
	v_mul_f64 v[23:24], v[30:31], v[10:11]
	v_mul_f64 v[25:26], v[30:31], v[8:9]
	v_fma_f64 v[8:9], v[28:29], v[8:9], v[23:24]
	buffer_load_dword v21, off, s[60:63], 0 offset:372 ; 4-byte Folded Reload
	buffer_load_dword v22, off, s[60:63], 0 offset:376 ; 4-byte Folded Reload
	;; [unrolled: 1-line block ×4, first 2 shown]
	v_fma_f64 v[10:11], v[28:29], v[10:11], -v[25:26]
	global_store_dwordx4 v[0:1], v[4:7], off
	v_add_co_u32_e64 v0, s[0:1], s2, v0
	v_addc_co_u32_e64 v1, s[0:1], v1, v27, s[0:1]
	v_mul_f64 v[4:5], v[8:9], s[4:5]
	v_mul_f64 v[6:7], v[10:11], s[4:5]
	ds_read_b128 v[8:11], v107 offset:4608
	global_store_dwordx4 v[0:1], v[4:7], off
	s_waitcnt vmcnt(2) lgkmcnt(1)
	v_mul_f64 v[16:17], v[23:24], v[14:15]
	v_mul_f64 v[18:19], v[23:24], v[12:13]
	v_fma_f64 v[12:13], v[21:22], v[12:13], v[16:17]
	v_fma_f64 v[14:15], v[21:22], v[14:15], -v[18:19]
	v_mul_f64 v[4:5], v[12:13], s[4:5]
	v_mul_f64 v[6:7], v[14:15], s[4:5]
	ds_read_b128 v[12:15], v107 offset:4992
	buffer_load_dword v23, off, s[60:63], 0 offset:260 ; 4-byte Folded Reload
	buffer_load_dword v24, off, s[60:63], 0 offset:264 ; 4-byte Folded Reload
	;; [unrolled: 1-line block ×9, first 2 shown]
	s_waitcnt vmcnt(5) lgkmcnt(1)
	v_mul_f64 v[16:17], v[25:26], v[10:11]
	v_mul_f64 v[18:19], v[25:26], v[8:9]
	s_waitcnt vmcnt(4)
	v_mad_u64_u32 v[20:21], s[0:1], s8, v22, 0
	v_add_co_u32_e64 v0, s[0:1], s2, v0
	v_addc_co_u32_e64 v1, s[0:1], v1, v27, s[0:1]
	v_fma_f64 v[8:9], v[23:24], v[8:9], v[16:17]
	v_mov_b32_e32 v16, v21
	v_mad_u64_u32 v[16:17], s[0:1], s9, v22, v[16:17]
	v_fma_f64 v[10:11], v[23:24], v[10:11], -v[18:19]
	s_waitcnt vmcnt(0) lgkmcnt(0)
	v_mul_f64 v[17:18], v[30:31], v[14:15]
	v_mul_f64 v[22:23], v[30:31], v[12:13]
	global_store_dwordx4 v[0:1], v[4:7], off
	v_mov_b32_e32 v21, v16
	v_mul_f64 v[4:5], v[8:9], s[4:5]
	v_lshlrev_b64 v[19:20], 4, v[20:21]
	v_mul_f64 v[6:7], v[10:11], s[4:5]
	ds_read_b128 v[8:11], v107 offset:5376
	v_fma_f64 v[16:17], v[28:29], v[12:13], v[17:18]
	v_fma_f64 v[21:22], v[28:29], v[14:15], -v[22:23]
	ds_read_b128 v[12:15], v107 offset:5760
	buffer_load_dword v28, off, s[60:63], 0 offset:340 ; 4-byte Folded Reload
	buffer_load_dword v29, off, s[60:63], 0 offset:344 ; 4-byte Folded Reload
	;; [unrolled: 1-line block ×4, first 2 shown]
	v_add_co_u32_e64 v18, s[0:1], v2, v19
	v_addc_co_u32_e64 v19, s[0:1], v3, v20, s[0:1]
	global_store_dwordx4 v[18:19], v[4:7], off
	v_mov_b32_e32 v20, s7
	v_mul_f64 v[6:7], v[21:22], s[4:5]
	v_mul_f64 v[4:5], v[16:17], s[4:5]
	v_add_co_u32_e64 v0, s[0:1], s6, v0
	v_addc_co_u32_e64 v1, s[0:1], v1, v20, s[0:1]
	s_waitcnt vmcnt(1) lgkmcnt(1)
	v_mul_f64 v[23:24], v[30:31], v[10:11]
	v_mul_f64 v[25:26], v[30:31], v[8:9]
	v_fma_f64 v[8:9], v[28:29], v[8:9], v[23:24]
	buffer_load_dword v21, off, s[60:63], 0 offset:292 ; 4-byte Folded Reload
	buffer_load_dword v22, off, s[60:63], 0 offset:296 ; 4-byte Folded Reload
	buffer_load_dword v23, off, s[60:63], 0 offset:300 ; 4-byte Folded Reload
	buffer_load_dword v24, off, s[60:63], 0 offset:304 ; 4-byte Folded Reload
	v_fma_f64 v[10:11], v[28:29], v[10:11], -v[25:26]
	global_store_dwordx4 v[0:1], v[4:7], off
	ds_read_b128 v[4:7], v107 offset:6144
	v_add_co_u32_e64 v0, s[0:1], s2, v0
	v_addc_co_u32_e64 v1, s[0:1], v1, v27, s[0:1]
	v_mul_f64 v[8:9], v[8:9], s[4:5]
	v_mul_f64 v[10:11], v[10:11], s[4:5]
	s_waitcnt vmcnt(1) lgkmcnt(1)
	v_mul_f64 v[16:17], v[23:24], v[14:15]
	v_mul_f64 v[18:19], v[23:24], v[12:13]
	v_fma_f64 v[12:13], v[21:22], v[12:13], v[16:17]
	v_fma_f64 v[14:15], v[21:22], v[14:15], -v[18:19]
	buffer_load_dword v20, off, s[60:63], 0 offset:276 ; 4-byte Folded Reload
	buffer_load_dword v21, off, s[60:63], 0 offset:280 ; 4-byte Folded Reload
	;; [unrolled: 1-line block ×4, first 2 shown]
	s_waitcnt vmcnt(0) lgkmcnt(0)
	v_mul_f64 v[16:17], v[22:23], v[6:7]
	global_store_dwordx4 v[0:1], v[8:11], off
	v_mul_f64 v[18:19], v[22:23], v[4:5]
	v_mul_f64 v[10:11], v[14:15], s[4:5]
	buffer_load_dword v14, off, s[60:63], 0 offset:192 ; 4-byte Folded Reload
	v_mul_f64 v[8:9], v[12:13], s[4:5]
	v_fma_f64 v[4:5], v[20:21], v[4:5], v[16:17]
	v_fma_f64 v[6:7], v[20:21], v[6:7], -v[18:19]
	v_mul_f64 v[4:5], v[4:5], s[4:5]
	v_mul_f64 v[6:7], v[6:7], s[4:5]
	s_waitcnt vmcnt(0)
	v_mad_u64_u32 v[12:13], s[0:1], s8, v14, 0
	v_add_co_u32_e64 v0, s[0:1], s2, v0
	v_addc_co_u32_e64 v1, s[0:1], v1, v27, s[0:1]
	v_mad_u64_u32 v[13:14], s[0:1], s9, v14, v[13:14]
	global_store_dwordx4 v[0:1], v[8:11], off
	s_nop 0
	v_lshlrev_b64 v[8:9], 4, v[12:13]
	v_add_co_u32_e64 v2, s[0:1], v2, v8
	v_addc_co_u32_e64 v3, s[0:1], v3, v9, s[0:1]
	global_store_dwordx4 v[2:3], v[4:7], off
	s_and_b64 exec, exec, vcc
	s_cbranch_execz .LBB0_15
; %bb.14:
	buffer_load_dword v17, off, s[60:63], 0 offset:132 ; 4-byte Folded Reload
	buffer_load_dword v18, off, s[60:63], 0 offset:136 ; 4-byte Folded Reload
	s_waitcnt vmcnt(0)
	global_load_dwordx4 v[2:5], v[17:18], off offset:272
	ds_read_b128 v[6:9], v107 offset:272
	ds_read_b128 v[10:13], v107 offset:656
	s_waitcnt vmcnt(0) lgkmcnt(1)
	v_mul_f64 v[14:15], v[8:9], v[4:5]
	v_mul_f64 v[4:5], v[6:7], v[4:5]
	v_fma_f64 v[6:7], v[6:7], v[2:3], v[14:15]
	v_fma_f64 v[4:5], v[2:3], v[8:9], -v[4:5]
	v_mul_f64 v[2:3], v[6:7], s[4:5]
	v_mul_f64 v[4:5], v[4:5], s[4:5]
	v_mov_b32_e32 v6, 0xffffea90
	v_mad_u64_u32 v[6:7], s[0:1], s8, v6, v[0:1]
	s_mul_i32 s0, s9, 0xffffea90
	s_sub_i32 s0, s0, s8
	v_add_u32_e32 v7, s0, v7
	s_movk_i32 s0, 0x1000
	global_store_dwordx4 v[6:7], v[2:5], off
	global_load_dwordx4 v[0:3], v[17:18], off offset:656
	s_waitcnt vmcnt(0) lgkmcnt(0)
	v_mul_f64 v[4:5], v[12:13], v[2:3]
	v_mul_f64 v[2:3], v[10:11], v[2:3]
	v_fma_f64 v[4:5], v[10:11], v[0:1], v[4:5]
	v_fma_f64 v[8:9], v[0:1], v[12:13], -v[2:3]
	v_mov_b32_e32 v0, s3
	v_add_co_u32_e32 v13, vcc, s2, v6
	v_addc_co_u32_e32 v14, vcc, v7, v0, vcc
	v_mul_f64 v[1:2], v[4:5], s[4:5]
	v_mul_f64 v[3:4], v[8:9], s[4:5]
	global_store_dwordx4 v[13:14], v[1:4], off
	global_load_dwordx4 v[1:4], v[17:18], off offset:1040
	ds_read_b128 v[5:8], v107 offset:1040
	ds_read_b128 v[9:12], v107 offset:1424
	s_waitcnt vmcnt(0) lgkmcnt(1)
	v_mul_f64 v[15:16], v[7:8], v[3:4]
	v_mul_f64 v[3:4], v[5:6], v[3:4]
	v_fma_f64 v[5:6], v[5:6], v[1:2], v[15:16]
	v_fma_f64 v[3:4], v[1:2], v[7:8], -v[3:4]
	v_mul_f64 v[1:2], v[5:6], s[4:5]
	v_mul_f64 v[3:4], v[3:4], s[4:5]
	v_add_co_u32_e32 v5, vcc, s2, v13
	v_addc_co_u32_e32 v6, vcc, v14, v0, vcc
	v_add_co_u32_e32 v13, vcc, s2, v5
	v_addc_co_u32_e32 v14, vcc, v6, v0, vcc
	global_store_dwordx4 v[5:6], v[1:4], off
	global_load_dwordx4 v[1:4], v[17:18], off offset:1424
	s_waitcnt vmcnt(0) lgkmcnt(0)
	v_mul_f64 v[7:8], v[11:12], v[3:4]
	v_mul_f64 v[3:4], v[9:10], v[3:4]
	v_fma_f64 v[7:8], v[9:10], v[1:2], v[7:8]
	v_fma_f64 v[3:4], v[1:2], v[11:12], -v[3:4]
	v_mul_f64 v[1:2], v[7:8], s[4:5]
	v_mul_f64 v[3:4], v[3:4], s[4:5]
	global_store_dwordx4 v[13:14], v[1:4], off
	global_load_dwordx4 v[1:4], v[17:18], off offset:1808
	ds_read_b128 v[5:8], v107 offset:1808
	ds_read_b128 v[9:12], v107 offset:2192
	s_waitcnt vmcnt(0) lgkmcnt(1)
	v_mul_f64 v[15:16], v[7:8], v[3:4]
	v_mul_f64 v[3:4], v[5:6], v[3:4]
	v_fma_f64 v[5:6], v[5:6], v[1:2], v[15:16]
	v_fma_f64 v[3:4], v[1:2], v[7:8], -v[3:4]
	v_mul_f64 v[1:2], v[5:6], s[4:5]
	v_mul_f64 v[3:4], v[3:4], s[4:5]
	v_add_co_u32_e32 v5, vcc, s2, v13
	v_addc_co_u32_e32 v6, vcc, v14, v0, vcc
	v_add_co_u32_e32 v13, vcc, s2, v5
	v_addc_co_u32_e32 v14, vcc, v6, v0, vcc
	global_store_dwordx4 v[5:6], v[1:4], off
	global_load_dwordx4 v[1:4], v[17:18], off offset:2192
	s_waitcnt vmcnt(0) lgkmcnt(0)
	v_mul_f64 v[7:8], v[11:12], v[3:4]
	v_mul_f64 v[3:4], v[9:10], v[3:4]
	v_fma_f64 v[7:8], v[9:10], v[1:2], v[7:8]
	v_fma_f64 v[3:4], v[1:2], v[11:12], -v[3:4]
	;; [unrolled: 24-line block ×3, first 2 shown]
	v_mul_f64 v[1:2], v[7:8], s[4:5]
	v_mul_f64 v[3:4], v[3:4], s[4:5]
	global_store_dwordx4 v[13:14], v[1:4], off
	global_load_dwordx4 v[1:4], v[17:18], off offset:3344
	ds_read_b128 v[5:8], v107 offset:3344
	ds_read_b128 v[9:12], v107 offset:3728
	s_waitcnt vmcnt(0) lgkmcnt(1)
	v_mul_f64 v[15:16], v[7:8], v[3:4]
	v_mul_f64 v[3:4], v[5:6], v[3:4]
	v_fma_f64 v[5:6], v[5:6], v[1:2], v[15:16]
	v_fma_f64 v[3:4], v[1:2], v[7:8], -v[3:4]
	v_mul_f64 v[1:2], v[5:6], s[4:5]
	v_mul_f64 v[3:4], v[3:4], s[4:5]
	v_add_co_u32_e32 v5, vcc, s2, v13
	v_addc_co_u32_e32 v6, vcc, v14, v0, vcc
	v_add_co_u32_e32 v13, vcc, s0, v17
	v_addc_co_u32_e32 v14, vcc, 0, v18, vcc
	global_store_dwordx4 v[5:6], v[1:4], off
	global_load_dwordx4 v[1:4], v[17:18], off offset:3728
	v_add_co_u32_e32 v15, vcc, s2, v5
	v_addc_co_u32_e32 v16, vcc, v6, v0, vcc
	s_waitcnt vmcnt(0) lgkmcnt(0)
	v_mul_f64 v[7:8], v[11:12], v[3:4]
	v_mul_f64 v[3:4], v[9:10], v[3:4]
	v_fma_f64 v[7:8], v[9:10], v[1:2], v[7:8]
	v_fma_f64 v[3:4], v[1:2], v[11:12], -v[3:4]
	v_mul_f64 v[1:2], v[7:8], s[4:5]
	v_mul_f64 v[3:4], v[3:4], s[4:5]
	global_store_dwordx4 v[15:16], v[1:4], off
	global_load_dwordx4 v[1:4], v[13:14], off offset:16
	ds_read_b128 v[5:8], v107 offset:4112
	ds_read_b128 v[9:12], v107 offset:4496
	s_waitcnt vmcnt(0) lgkmcnt(1)
	v_mul_f64 v[17:18], v[7:8], v[3:4]
	v_mul_f64 v[3:4], v[5:6], v[3:4]
	v_fma_f64 v[5:6], v[5:6], v[1:2], v[17:18]
	v_fma_f64 v[3:4], v[1:2], v[7:8], -v[3:4]
	v_mul_f64 v[1:2], v[5:6], s[4:5]
	v_mul_f64 v[3:4], v[3:4], s[4:5]
	v_add_co_u32_e32 v5, vcc, s2, v15
	v_addc_co_u32_e32 v6, vcc, v16, v0, vcc
	v_add_co_u32_e32 v15, vcc, s2, v5
	v_addc_co_u32_e32 v16, vcc, v6, v0, vcc
	global_store_dwordx4 v[5:6], v[1:4], off
	global_load_dwordx4 v[1:4], v[13:14], off offset:400
	s_waitcnt vmcnt(0) lgkmcnt(0)
	v_mul_f64 v[7:8], v[11:12], v[3:4]
	v_mul_f64 v[3:4], v[9:10], v[3:4]
	v_fma_f64 v[7:8], v[9:10], v[1:2], v[7:8]
	v_fma_f64 v[3:4], v[1:2], v[11:12], -v[3:4]
	v_mul_f64 v[1:2], v[7:8], s[4:5]
	v_mul_f64 v[3:4], v[3:4], s[4:5]
	global_store_dwordx4 v[15:16], v[1:4], off
	global_load_dwordx4 v[1:4], v[13:14], off offset:784
	ds_read_b128 v[5:8], v107 offset:4880
	ds_read_b128 v[9:12], v107 offset:5264
	s_waitcnt vmcnt(0) lgkmcnt(1)
	v_mul_f64 v[17:18], v[7:8], v[3:4]
	v_mul_f64 v[3:4], v[5:6], v[3:4]
	v_fma_f64 v[5:6], v[5:6], v[1:2], v[17:18]
	v_fma_f64 v[3:4], v[1:2], v[7:8], -v[3:4]
	v_mul_f64 v[1:2], v[5:6], s[4:5]
	v_mul_f64 v[3:4], v[3:4], s[4:5]
	v_add_co_u32_e32 v5, vcc, s2, v15
	v_addc_co_u32_e32 v6, vcc, v16, v0, vcc
	v_add_co_u32_e32 v15, vcc, s2, v5
	v_addc_co_u32_e32 v16, vcc, v6, v0, vcc
	global_store_dwordx4 v[5:6], v[1:4], off
	global_load_dwordx4 v[1:4], v[13:14], off offset:1168
	s_waitcnt vmcnt(0) lgkmcnt(0)
	v_mul_f64 v[7:8], v[11:12], v[3:4]
	v_mul_f64 v[3:4], v[9:10], v[3:4]
	v_fma_f64 v[7:8], v[9:10], v[1:2], v[7:8]
	v_fma_f64 v[3:4], v[1:2], v[11:12], -v[3:4]
	v_mul_f64 v[1:2], v[7:8], s[4:5]
	v_mul_f64 v[3:4], v[3:4], s[4:5]
	global_store_dwordx4 v[15:16], v[1:4], off
	global_load_dwordx4 v[1:4], v[13:14], off offset:1552
	ds_read_b128 v[5:8], v107 offset:5648
	ds_read_b128 v[9:12], v107 offset:6032
	s_waitcnt vmcnt(0) lgkmcnt(1)
	v_mul_f64 v[17:18], v[7:8], v[3:4]
	v_mul_f64 v[3:4], v[5:6], v[3:4]
	v_fma_f64 v[5:6], v[5:6], v[1:2], v[17:18]
	v_fma_f64 v[3:4], v[1:2], v[7:8], -v[3:4]
	v_mul_f64 v[1:2], v[5:6], s[4:5]
	v_mul_f64 v[3:4], v[3:4], s[4:5]
	v_add_co_u32_e32 v5, vcc, s2, v15
	v_addc_co_u32_e32 v6, vcc, v16, v0, vcc
	global_store_dwordx4 v[5:6], v[1:4], off
	global_load_dwordx4 v[1:4], v[13:14], off offset:1936
	s_waitcnt vmcnt(0) lgkmcnt(0)
	v_mul_f64 v[7:8], v[11:12], v[3:4]
	v_mul_f64 v[3:4], v[9:10], v[3:4]
	v_fma_f64 v[7:8], v[9:10], v[1:2], v[7:8]
	v_fma_f64 v[3:4], v[1:2], v[11:12], -v[3:4]
	v_add_co_u32_e32 v9, vcc, s2, v5
	v_addc_co_u32_e32 v10, vcc, v6, v0, vcc
	v_mul_f64 v[1:2], v[7:8], s[4:5]
	v_mul_f64 v[3:4], v[3:4], s[4:5]
	ds_read_b128 v[5:8], v107 offset:6416
	global_store_dwordx4 v[9:10], v[1:4], off
	global_load_dwordx4 v[1:4], v[13:14], off offset:2320
	s_waitcnt vmcnt(0) lgkmcnt(0)
	v_mul_f64 v[11:12], v[7:8], v[3:4]
	v_mul_f64 v[3:4], v[5:6], v[3:4]
	v_fma_f64 v[5:6], v[5:6], v[1:2], v[11:12]
	v_fma_f64 v[3:4], v[1:2], v[7:8], -v[3:4]
	v_mul_f64 v[1:2], v[5:6], s[4:5]
	v_mul_f64 v[3:4], v[3:4], s[4:5]
	v_add_co_u32_e32 v5, vcc, s2, v9
	v_addc_co_u32_e32 v6, vcc, v10, v0, vcc
	global_store_dwordx4 v[5:6], v[1:4], off
.LBB0_15:
	s_endpgm
	.section	.rodata,"a",@progbits
	.p2align	6, 0x0
	.amdhsa_kernel bluestein_single_fwd_len408_dim1_dp_op_CI_CI
		.amdhsa_group_segment_fixed_size 19584
		.amdhsa_private_segment_fixed_size 1292
		.amdhsa_kernarg_size 104
		.amdhsa_user_sgpr_count 6
		.amdhsa_user_sgpr_private_segment_buffer 1
		.amdhsa_user_sgpr_dispatch_ptr 0
		.amdhsa_user_sgpr_queue_ptr 0
		.amdhsa_user_sgpr_kernarg_segment_ptr 1
		.amdhsa_user_sgpr_dispatch_id 0
		.amdhsa_user_sgpr_flat_scratch_init 0
		.amdhsa_user_sgpr_private_segment_size 0
		.amdhsa_uses_dynamic_stack 0
		.amdhsa_system_sgpr_private_segment_wavefront_offset 1
		.amdhsa_system_sgpr_workgroup_id_x 1
		.amdhsa_system_sgpr_workgroup_id_y 0
		.amdhsa_system_sgpr_workgroup_id_z 0
		.amdhsa_system_sgpr_workgroup_info 0
		.amdhsa_system_vgpr_workitem_id 0
		.amdhsa_next_free_vgpr 256
		.amdhsa_next_free_sgpr 64
		.amdhsa_reserve_vcc 1
		.amdhsa_reserve_flat_scratch 0
		.amdhsa_float_round_mode_32 0
		.amdhsa_float_round_mode_16_64 0
		.amdhsa_float_denorm_mode_32 3
		.amdhsa_float_denorm_mode_16_64 3
		.amdhsa_dx10_clamp 1
		.amdhsa_ieee_mode 1
		.amdhsa_fp16_overflow 0
		.amdhsa_exception_fp_ieee_invalid_op 0
		.amdhsa_exception_fp_denorm_src 0
		.amdhsa_exception_fp_ieee_div_zero 0
		.amdhsa_exception_fp_ieee_overflow 0
		.amdhsa_exception_fp_ieee_underflow 0
		.amdhsa_exception_fp_ieee_inexact 0
		.amdhsa_exception_int_div_zero 0
	.end_amdhsa_kernel
	.text
.Lfunc_end0:
	.size	bluestein_single_fwd_len408_dim1_dp_op_CI_CI, .Lfunc_end0-bluestein_single_fwd_len408_dim1_dp_op_CI_CI
                                        ; -- End function
	.section	.AMDGPU.csdata,"",@progbits
; Kernel info:
; codeLenInByte = 51104
; NumSgprs: 68
; NumVgprs: 256
; ScratchSize: 1292
; MemoryBound: 0
; FloatMode: 240
; IeeeMode: 1
; LDSByteSize: 19584 bytes/workgroup (compile time only)
; SGPRBlocks: 8
; VGPRBlocks: 63
; NumSGPRsForWavesPerEU: 68
; NumVGPRsForWavesPerEU: 256
; Occupancy: 1
; WaveLimiterHint : 1
; COMPUTE_PGM_RSRC2:SCRATCH_EN: 1
; COMPUTE_PGM_RSRC2:USER_SGPR: 6
; COMPUTE_PGM_RSRC2:TRAP_HANDLER: 0
; COMPUTE_PGM_RSRC2:TGID_X_EN: 1
; COMPUTE_PGM_RSRC2:TGID_Y_EN: 0
; COMPUTE_PGM_RSRC2:TGID_Z_EN: 0
; COMPUTE_PGM_RSRC2:TIDIG_COMP_CNT: 0
	.type	__hip_cuid_e3aed7304c5c20aa,@object ; @__hip_cuid_e3aed7304c5c20aa
	.section	.bss,"aw",@nobits
	.globl	__hip_cuid_e3aed7304c5c20aa
__hip_cuid_e3aed7304c5c20aa:
	.byte	0                               ; 0x0
	.size	__hip_cuid_e3aed7304c5c20aa, 1

	.ident	"AMD clang version 19.0.0git (https://github.com/RadeonOpenCompute/llvm-project roc-6.4.0 25133 c7fe45cf4b819c5991fe208aaa96edf142730f1d)"
	.section	".note.GNU-stack","",@progbits
	.addrsig
	.addrsig_sym __hip_cuid_e3aed7304c5c20aa
	.amdgpu_metadata
---
amdhsa.kernels:
  - .args:
      - .actual_access:  read_only
        .address_space:  global
        .offset:         0
        .size:           8
        .value_kind:     global_buffer
      - .actual_access:  read_only
        .address_space:  global
        .offset:         8
        .size:           8
        .value_kind:     global_buffer
      - .actual_access:  read_only
        .address_space:  global
        .offset:         16
        .size:           8
        .value_kind:     global_buffer
      - .actual_access:  read_only
        .address_space:  global
        .offset:         24
        .size:           8
        .value_kind:     global_buffer
      - .actual_access:  read_only
        .address_space:  global
        .offset:         32
        .size:           8
        .value_kind:     global_buffer
      - .offset:         40
        .size:           8
        .value_kind:     by_value
      - .address_space:  global
        .offset:         48
        .size:           8
        .value_kind:     global_buffer
      - .address_space:  global
        .offset:         56
        .size:           8
        .value_kind:     global_buffer
      - .address_space:  global
        .offset:         64
        .size:           8
        .value_kind:     global_buffer
      - .address_space:  global
        .offset:         72
        .size:           8
        .value_kind:     global_buffer
      - .offset:         80
        .size:           4
        .value_kind:     by_value
      - .address_space:  global
        .offset:         88
        .size:           8
        .value_kind:     global_buffer
      - .address_space:  global
        .offset:         96
        .size:           8
        .value_kind:     global_buffer
    .group_segment_fixed_size: 19584
    .kernarg_segment_align: 8
    .kernarg_segment_size: 104
    .language:       OpenCL C
    .language_version:
      - 2
      - 0
    .max_flat_workgroup_size: 51
    .name:           bluestein_single_fwd_len408_dim1_dp_op_CI_CI
    .private_segment_fixed_size: 1292
    .sgpr_count:     68
    .sgpr_spill_count: 0
    .symbol:         bluestein_single_fwd_len408_dim1_dp_op_CI_CI.kd
    .uniform_work_group_size: 1
    .uses_dynamic_stack: false
    .vgpr_count:     256
    .vgpr_spill_count: 421
    .wavefront_size: 64
amdhsa.target:   amdgcn-amd-amdhsa--gfx906
amdhsa.version:
  - 1
  - 2
...

	.end_amdgpu_metadata
